;; amdgpu-corpus repo=ROCm/rocFFT kind=compiled arch=gfx1201 opt=O3
	.text
	.amdgcn_target "amdgcn-amd-amdhsa--gfx1201"
	.amdhsa_code_object_version 6
	.protected	bluestein_single_back_len208_dim1_dp_op_CI_CI ; -- Begin function bluestein_single_back_len208_dim1_dp_op_CI_CI
	.globl	bluestein_single_back_len208_dim1_dp_op_CI_CI
	.p2align	8
	.type	bluestein_single_back_len208_dim1_dp_op_CI_CI,@function
bluestein_single_back_len208_dim1_dp_op_CI_CI: ; @bluestein_single_back_len208_dim1_dp_op_CI_CI
; %bb.0:
	s_load_b128 s[16:19], s[0:1], 0x28
	v_lshrrev_b32_e32 v52, 4, v0
	v_mov_b32_e32 v177, 0
	s_mov_b32 s2, exec_lo
	s_delay_alu instid0(VALU_DEP_2) | instskip(SKIP_1) | instid1(VALU_DEP_1)
	v_lshl_or_b32 v176, ttmp9, 2, v52
	s_wait_kmcnt 0x0
	v_cmpx_gt_u64_e64 s[16:17], v[176:177]
	s_cbranch_execz .LBB0_10
; %bb.1:
	s_clause 0x1
	s_load_b128 s[4:7], s[0:1], 0x18
	s_load_b128 s[8:11], s[0:1], 0x0
	v_and_b32_e32 v199, 15, v0
	s_mov_b32 s28, 0x42a4c3d2
	s_mov_b32 s34, 0x66966769
	;; [unrolled: 1-line block ×17, first 2 shown]
	s_wait_kmcnt 0x0
	s_load_b128 s[12:15], s[4:5], 0x0
	s_mov_b32 s38, s24
	s_mov_b32 s37, 0x3fefc445
	;; [unrolled: 1-line block ×5, first 2 shown]
	v_lshlrev_b32_e32 v202, 4, v199
	s_wait_kmcnt 0x0
	v_mad_co_u64_u32 v[0:1], null, s14, v176, 0
	v_mad_co_u64_u32 v[2:3], null, s12, v199, 0
	s_lshl_b64 s[2:3], s[12:13], 8
	s_delay_alu instid0(VALU_DEP_1) | instskip(SKIP_2) | instid1(VALU_DEP_1)
	v_mad_co_u64_u32 v[4:5], null, s15, v176, v[1:2]
	s_mov_b32 s14, 0xb2365da1
	s_mov_b32 s15, 0xbfd6b1d8
	v_mad_co_u64_u32 v[5:6], null, s13, v199, v[3:4]
	v_mov_b32_e32 v1, v4
	s_mov_b32 s12, 0xd0032e0c
	s_mov_b32 s13, 0xbfe7f3cc
	s_delay_alu instid0(VALU_DEP_1) | instskip(NEXT) | instid1(VALU_DEP_3)
	v_lshlrev_b64_e32 v[0:1], 4, v[0:1]
	v_mov_b32_e32 v3, v5
	s_delay_alu instid0(VALU_DEP_2) | instskip(NEXT) | instid1(VALU_DEP_2)
	v_add_co_u32 v0, vcc_lo, s18, v0
	v_lshlrev_b64_e32 v[2:3], 4, v[2:3]
	s_delay_alu instid0(VALU_DEP_4) | instskip(SKIP_2) | instid1(VALU_DEP_2)
	v_add_co_ci_u32_e32 v1, vcc_lo, s19, v1, vcc_lo
	s_mov_b32 s18, 0x1ea71119
	s_mov_b32 s19, 0x3fe22d96
	v_add_co_u32 v0, vcc_lo, v0, v2
	s_wait_alu 0xfffd
	v_add_co_ci_u32_e32 v1, vcc_lo, v1, v3, vcc_lo
	global_load_b128 v[12:15], v[0:1], off
	v_add_co_u32 v0, vcc_lo, v0, s2
	s_wait_alu 0xfffd
	v_add_co_ci_u32_e32 v1, vcc_lo, s3, v1, vcc_lo
	s_clause 0x1
	global_load_b128 v[8:11], v202, s[8:9]
	global_load_b128 v[4:7], v202, s[8:9] offset:256
	global_load_b128 v[16:19], v[0:1], off
	v_add_co_u32 v24, vcc_lo, v0, s2
	s_wait_alu 0xfffd
	v_add_co_ci_u32_e32 v25, vcc_lo, s3, v1, vcc_lo
	global_load_b128 v[20:23], v[24:25], off
	global_load_b128 v[0:3], v202, s[8:9] offset:512
	v_add_co_u32 v24, vcc_lo, v24, s2
	s_wait_alu 0xfffd
	v_add_co_ci_u32_e32 v25, vcc_lo, s3, v25, vcc_lo
	s_wait_loadcnt 0x4
	v_mul_f64_e32 v[26:27], v[14:15], v[10:11]
	v_mul_f64_e32 v[28:29], v[12:13], v[10:11]
	scratch_store_b128 off, v[8:11], off offset:32 ; 16-byte Folded Spill
	s_wait_loadcnt 0x2
	v_mul_f64_e32 v[30:31], v[18:19], v[6:7]
	v_mul_f64_e32 v[32:33], v[16:17], v[6:7]
	scratch_store_b128 off, v[4:7], off offset:16 ; 16-byte Folded Spill
	s_wait_loadcnt 0x0
	scratch_store_b128 off, v[0:3], off     ; 16-byte Folded Spill
	v_fma_f64 v[53:54], v[12:13], v[8:9], v[26:27]
	v_fma_f64 v[55:56], v[14:15], v[8:9], -v[28:29]
	global_load_b128 v[8:11], v202, s[8:9] offset:768
	v_mul_f64_e32 v[26:27], v[22:23], v[2:3]
	v_fma_f64 v[57:58], v[16:17], v[4:5], v[30:31]
	v_mul_f64_e32 v[16:17], v[20:21], v[2:3]
	v_add_co_u32 v28, vcc_lo, v24, s2
	s_wait_alu 0xfffd
	v_add_co_ci_u32_e32 v29, vcc_lo, s3, v25, vcc_lo
	v_fma_f64 v[59:60], v[18:19], v[4:5], -v[32:33]
	v_fma_f64 v[61:62], v[20:21], v[0:1], v[26:27]
	v_fma_f64 v[63:64], v[22:23], v[0:1], -v[16:17]
	s_clause 0x1
	global_load_b128 v[16:19], v[24:25], off
	global_load_b128 v[24:27], v[28:29], off
	v_add_co_u32 v28, vcc_lo, v28, s2
	s_wait_alu 0xfffd
	v_add_co_ci_u32_e32 v29, vcc_lo, s3, v29, vcc_lo
	s_delay_alu instid0(VALU_DEP_2) | instskip(SKIP_1) | instid1(VALU_DEP_2)
	v_add_co_u32 v36, vcc_lo, v28, s2
	s_wait_alu 0xfffd
	v_add_co_ci_u32_e32 v37, vcc_lo, s3, v29, vcc_lo
	s_wait_loadcnt 0x2
	scratch_store_b128 off, v[8:11], off offset:48 ; 16-byte Folded Spill
	s_clause 0x1
	global_load_b128 v[0:3], v202, s[8:9] offset:1024
	global_load_b128 v[4:7], v202, s[8:9] offset:1280
	s_wait_loadcnt 0x3
	v_mul_f64_e32 v[20:21], v[18:19], v[10:11]
	v_mul_f64_e32 v[22:23], v[16:17], v[10:11]
	s_delay_alu instid0(VALU_DEP_2) | instskip(NEXT) | instid1(VALU_DEP_2)
	v_fma_f64 v[65:66], v[16:17], v[8:9], v[20:21]
	v_fma_f64 v[67:68], v[18:19], v[8:9], -v[22:23]
	s_wait_loadcnt 0x1
	v_mul_f64_e32 v[30:31], v[26:27], v[2:3]
	v_mul_f64_e32 v[32:33], v[24:25], v[2:3]
	scratch_store_b128 off, v[0:3], off offset:64 ; 16-byte Folded Spill
	s_wait_loadcnt 0x0
	scratch_store_b128 off, v[4:7], off offset:80 ; 16-byte Folded Spill
	v_fma_f64 v[69:70], v[24:25], v[0:1], v[30:31]
	v_fma_f64 v[71:72], v[26:27], v[0:1], -v[32:33]
	global_load_b128 v[24:27], v[28:29], off
	s_wait_loadcnt 0x0
	v_mul_f64_e32 v[30:31], v[26:27], v[6:7]
	v_mul_f64_e32 v[32:33], v[24:25], v[6:7]
	s_delay_alu instid0(VALU_DEP_2) | instskip(NEXT) | instid1(VALU_DEP_2)
	v_fma_f64 v[73:74], v[24:25], v[4:5], v[30:31]
	v_fma_f64 v[75:76], v[26:27], v[4:5], -v[32:33]
	global_load_b128 v[32:35], v[36:37], off
	s_clause 0x1
	global_load_b128 v[0:3], v202, s[8:9] offset:1536
	global_load_b128 v[4:7], v202, s[8:9] offset:1792
	v_add_co_u32 v36, vcc_lo, v36, s2
	s_wait_alu 0xfffd
	v_add_co_ci_u32_e32 v37, vcc_lo, s3, v37, vcc_lo
	s_delay_alu instid0(VALU_DEP_2) | instskip(SKIP_1) | instid1(VALU_DEP_2)
	v_add_co_u32 v44, vcc_lo, v36, s2
	s_wait_alu 0xfffd
	v_add_co_ci_u32_e32 v45, vcc_lo, s3, v37, vcc_lo
	s_wait_loadcnt 0x1
	v_mul_f64_e32 v[38:39], v[34:35], v[2:3]
	v_mul_f64_e32 v[40:41], v[32:33], v[2:3]
	scratch_store_b128 off, v[0:3], off offset:96 ; 16-byte Folded Spill
	s_wait_loadcnt 0x0
	scratch_store_b128 off, v[4:7], off offset:112 ; 16-byte Folded Spill
	v_fma_f64 v[77:78], v[32:33], v[0:1], v[38:39]
	v_fma_f64 v[79:80], v[34:35], v[0:1], -v[40:41]
	global_load_b128 v[32:35], v[36:37], off
	s_wait_loadcnt 0x0
	v_mul_f64_e32 v[38:39], v[34:35], v[6:7]
	v_mul_f64_e32 v[40:41], v[32:33], v[6:7]
	s_delay_alu instid0(VALU_DEP_2) | instskip(NEXT) | instid1(VALU_DEP_2)
	v_fma_f64 v[81:82], v[32:33], v[4:5], v[38:39]
	v_fma_f64 v[83:84], v[34:35], v[4:5], -v[40:41]
	global_load_b128 v[40:43], v[44:45], off
	s_clause 0x1
	global_load_b128 v[0:3], v202, s[8:9] offset:2048
	global_load_b128 v[4:7], v202, s[8:9] offset:2304
	v_add_co_u32 v44, vcc_lo, v44, s2
	s_wait_alu 0xfffd
	v_add_co_ci_u32_e32 v45, vcc_lo, s3, v45, vcc_lo
	s_delay_alu instid0(VALU_DEP_2) | instskip(SKIP_1) | instid1(VALU_DEP_2)
	v_add_co_u32 v89, vcc_lo, v44, s2
	s_wait_alu 0xfffd
	v_add_co_ci_u32_e32 v90, vcc_lo, s3, v45, vcc_lo
	s_wait_loadcnt 0x1
	v_mul_f64_e32 v[46:47], v[42:43], v[2:3]
	v_mul_f64_e32 v[48:49], v[40:41], v[2:3]
	scratch_store_b128 off, v[0:3], off offset:128 ; 16-byte Folded Spill
	s_wait_loadcnt 0x0
	scratch_store_b128 off, v[4:7], off offset:144 ; 16-byte Folded Spill
	v_fma_f64 v[85:86], v[40:41], v[0:1], v[46:47]
	v_fma_f64 v[87:88], v[42:43], v[0:1], -v[48:49]
	global_load_b128 v[40:43], v[44:45], off
	s_wait_loadcnt 0x0
	v_mul_f64_e32 v[46:47], v[42:43], v[6:7]
	v_mul_f64_e32 v[48:49], v[40:41], v[6:7]
	s_delay_alu instid0(VALU_DEP_2) | instskip(NEXT) | instid1(VALU_DEP_2)
	v_fma_f64 v[93:94], v[40:41], v[4:5], v[46:47]
	v_fma_f64 v[95:96], v[42:43], v[4:5], -v[48:49]
	global_load_b128 v[48:51], v[89:90], off
	s_clause 0x1
	global_load_b128 v[0:3], v202, s[8:9] offset:2560
	global_load_b128 v[4:7], v202, s[8:9] offset:2816
	v_add_co_u32 v89, vcc_lo, v89, s2
	s_wait_alu 0xfffd
	v_add_co_ci_u32_e32 v90, vcc_lo, s3, v90, vcc_lo
	s_wait_loadcnt 0x1
	v_mul_f64_e32 v[91:92], v[50:51], v[2:3]
	v_mul_f64_e32 v[99:100], v[48:49], v[2:3]
	scratch_store_b128 off, v[0:3], off offset:160 ; 16-byte Folded Spill
	s_wait_loadcnt 0x0
	scratch_store_b128 off, v[4:7], off offset:176 ; 16-byte Folded Spill
	v_fma_f64 v[97:98], v[48:49], v[0:1], v[91:92]
	v_fma_f64 v[99:100], v[50:51], v[0:1], -v[99:100]
	global_load_b128 v[48:51], v[89:90], off
	s_wait_loadcnt 0x0
	v_mul_f64_e32 v[91:92], v[50:51], v[6:7]
	v_mul_f64_e32 v[103:104], v[48:49], v[6:7]
	s_delay_alu instid0(VALU_DEP_2)
	v_fma_f64 v[101:102], v[48:49], v[4:5], v[91:92]
	v_add_co_u32 v48, vcc_lo, v89, s2
	s_wait_alu 0xfffd
	v_add_co_ci_u32_e32 v49, vcc_lo, s3, v90, vcc_lo
	global_load_b128 v[89:92], v[48:49], off
	global_load_b128 v[0:3], v202, s[8:9] offset:3072
	v_fma_f64 v[103:104], v[50:51], v[4:5], -v[103:104]
	s_mov_b32 s2, 0x93053d00
	s_mov_b32 s3, 0xbfef11f4
	v_cmp_gt_u32_e32 vcc_lo, 13, v199
	s_wait_loadcnt 0x0
	v_mul_f64_e32 v[105:106], v[91:92], v[2:3]
	v_mul_f64_e32 v[107:108], v[89:90], v[2:3]
	scratch_store_b128 off, v[0:3], off offset:192 ; 16-byte Folded Spill
	v_fma_f64 v[105:106], v[89:90], v[0:1], v[105:106]
	v_fma_f64 v[107:108], v[91:92], v[0:1], -v[107:108]
	v_mul_u32_u24_e32 v92, 0xd0, v52
	s_delay_alu instid0(VALU_DEP_1) | instskip(SKIP_1) | instid1(VALU_DEP_2)
	v_or_b32_e32 v0, v92, v199
	v_lshl_or_b32 v200, v92, 4, v202
	v_lshlrev_b32_e32 v2, 4, v0
	v_mul_u32_u24_e32 v0, 13, v199
	ds_store_b128 v2, v[53:56]
	ds_store_b128 v200, v[57:60] offset:256
	ds_store_b128 v200, v[61:64] offset:512
	;; [unrolled: 1-line block ×12, first 2 shown]
	s_load_b128 s[4:7], s[6:7], 0x0
	global_wb scope:SCOPE_SE
	s_wait_storecnt_dscnt 0x0
	s_wait_kmcnt 0x0
	s_barrier_signal -1
	s_barrier_wait -1
	global_inv scope:SCOPE_SE
	ds_load_b128 v[52:55], v2
	ds_load_b128 v[56:59], v200 offset:256
	ds_load_b128 v[60:63], v200 offset:512
	;; [unrolled: 1-line block ×3, first 2 shown]
	s_wait_dscnt 0x2
	v_add_f64_e32 v[68:69], v[52:53], v[56:57]
	v_add_f64_e32 v[70:71], v[54:55], v[58:59]
	s_wait_dscnt 0x1
	s_delay_alu instid0(VALU_DEP_2) | instskip(NEXT) | instid1(VALU_DEP_2)
	v_add_f64_e32 v[68:69], v[68:69], v[60:61]
	v_add_f64_e32 v[70:71], v[70:71], v[62:63]
	s_wait_dscnt 0x0
	s_delay_alu instid0(VALU_DEP_2) | instskip(NEXT) | instid1(VALU_DEP_2)
	v_add_f64_e32 v[76:77], v[68:69], v[64:65]
	v_add_f64_e32 v[78:79], v[70:71], v[66:67]
	ds_load_b128 v[68:71], v200 offset:1024
	ds_load_b128 v[72:75], v200 offset:1280
	;; [unrolled: 1-line block ×4, first 2 shown]
	s_wait_dscnt 0x0
	v_add_f64_e64 v[84:85], v[80:81], -v[88:89]
	v_add_f64_e64 v[86:87], v[82:83], -v[90:91]
	v_add_f64_e32 v[76:77], v[76:77], v[68:69]
	v_add_f64_e32 v[78:79], v[78:79], v[70:71]
	s_delay_alu instid0(VALU_DEP_4) | instskip(NEXT) | instid1(VALU_DEP_4)
	v_mul_f64_e32 v[215:216], s[24:25], v[84:85]
	v_mul_f64_e32 v[177:178], s[30:31], v[86:87]
	;; [unrolled: 1-line block ×5, first 2 shown]
	v_add_f64_e32 v[76:77], v[76:77], v[72:73]
	v_add_f64_e32 v[78:79], v[78:79], v[74:75]
	s_delay_alu instid0(VALU_DEP_2) | instskip(NEXT) | instid1(VALU_DEP_2)
	v_add_f64_e32 v[93:94], v[76:77], v[80:81]
	v_add_f64_e32 v[95:96], v[78:79], v[82:83]
	;; [unrolled: 1-line block ×4, first 2 shown]
	s_delay_alu instid0(VALU_DEP_4) | instskip(NEXT) | instid1(VALU_DEP_4)
	v_add_f64_e32 v[101:102], v[93:94], v[88:89]
	v_add_f64_e32 v[103:104], v[95:96], v[90:91]
	ds_load_b128 v[93:96], v200 offset:2048
	ds_load_b128 v[97:100], v200 offset:2304
	s_wait_dscnt 0x1
	v_add_f64_e32 v[80:81], v[72:73], v[93:94]
	v_add_f64_e32 v[82:83], v[74:75], v[95:96]
	v_add_f64_e64 v[88:89], v[72:73], -v[93:94]
	v_add_f64_e64 v[90:91], v[74:75], -v[95:96]
	s_wait_dscnt 0x0
	v_add_f64_e32 v[72:73], v[68:69], v[97:98]
	v_add_f64_e32 v[74:75], v[70:71], v[99:100]
	v_add_f64_e64 v[68:69], v[68:69], -v[97:98]
	v_add_f64_e64 v[70:71], v[70:71], -v[99:100]
	v_add_f64_e32 v[93:94], v[101:102], v[93:94]
	v_add_f64_e32 v[95:96], v[103:104], v[95:96]
	v_mul_f64_e32 v[174:175], s[24:25], v[88:89]
	v_mul_f64_e32 v[172:173], s[24:25], v[90:91]
	;; [unrolled: 1-line block ×12, first 2 shown]
	v_add_f64_e32 v[101:102], v[93:94], v[97:98]
	v_add_f64_e32 v[103:104], v[95:96], v[99:100]
	ds_load_b128 v[93:96], v200 offset:2560
	ds_load_b128 v[97:100], v200 offset:2816
	s_wait_dscnt 0x1
	v_add_f64_e32 v[105:106], v[64:65], v[93:94]
	v_add_f64_e32 v[107:108], v[66:67], v[95:96]
	v_add_f64_e64 v[64:65], v[64:65], -v[93:94]
	v_add_f64_e64 v[66:67], v[66:67], -v[95:96]
	s_wait_dscnt 0x0
	v_add_f64_e32 v[109:110], v[60:61], v[97:98]
	v_add_f64_e32 v[148:149], v[62:63], v[99:100]
	;; [unrolled: 1-line block ×4, first 2 shown]
	v_add_f64_e64 v[101:102], v[60:61], -v[97:98]
	v_add_f64_e64 v[103:104], v[62:63], -v[99:100]
	ds_load_b128 v[60:63], v200 offset:3072
	global_wb scope:SCOPE_SE
	s_wait_dscnt 0x0
	s_barrier_signal -1
	s_barrier_wait -1
	global_inv scope:SCOPE_SE
	v_mul_f64_e32 v[166:167], s[34:35], v[64:65]
	v_mul_f64_e32 v[179:180], s[30:31], v[66:67]
	;; [unrolled: 1-line block ×7, first 2 shown]
	v_add_f64_e32 v[93:94], v[93:94], v[97:98]
	v_add_f64_e32 v[95:96], v[95:96], v[99:100]
	v_add_f64_e64 v[97:98], v[58:59], -v[62:63]
	v_add_f64_e64 v[99:100], v[56:57], -v[60:61]
	v_add_f64_e32 v[56:57], v[56:57], v[60:61]
	v_add_f64_e32 v[58:59], v[58:59], v[62:63]
	v_mul_f64_e32 v[162:163], s[22:23], v[101:102]
	v_mul_f64_e32 v[158:159], s[30:31], v[103:104]
	;; [unrolled: 1-line block ×7, first 2 shown]
	v_add_f64_e32 v[112:113], v[93:94], v[60:61]
	v_add_f64_e32 v[114:115], v[95:96], v[62:63]
	v_mul_f64_e32 v[60:61], s[26:27], v[97:98]
	v_mul_f64_e32 v[62:63], s[28:29], v[97:98]
	;; [unrolled: 1-line block ×10, first 2 shown]
	v_fma_f64 v[118:119], v[56:57], s[20:21], -v[60:61]
	v_fma_f64 v[60:61], v[56:57], s[20:21], v[60:61]
	v_fma_f64 v[120:121], v[56:57], s[18:19], -v[62:63]
	v_fma_f64 v[62:63], v[56:57], s[18:19], v[62:63]
	;; [unrolled: 2-line block ×6, first 2 shown]
	v_mul_f64_e32 v[97:98], s[26:27], v[99:100]
	v_mul_f64_e32 v[99:100], s[30:31], v[99:100]
	v_fma_f64 v[140:141], v[58:59], s[18:19], v[130:131]
	v_fma_f64 v[142:143], v[58:59], s[16:17], v[132:133]
	v_fma_f64 v[132:133], v[58:59], s[16:17], -v[132:133]
	v_fma_f64 v[144:145], v[58:59], s[14:15], v[134:135]
	v_fma_f64 v[134:135], v[58:59], s[14:15], -v[134:135]
	;; [unrolled: 2-line block ×3, first 2 shown]
	v_fma_f64 v[130:131], v[58:59], s[18:19], -v[130:131]
	s_mov_b32 s27, 0x3fddbe06
	s_wait_alu 0xfffe
	v_mul_f64_e32 v[191:192], s[26:27], v[86:87]
	v_mul_f64_e32 v[193:194], s[26:27], v[84:85]
	;; [unrolled: 1-line block ×9, first 2 shown]
	v_add_f64_e32 v[60:61], v[52:53], v[60:61]
	v_add_f64_e32 v[62:63], v[52:53], v[62:63]
	;; [unrolled: 1-line block ×5, first 2 shown]
	v_fma_f64 v[138:139], v[58:59], s[20:21], v[97:98]
	v_fma_f64 v[97:98], v[58:59], s[20:21], -v[97:98]
	v_fma_f64 v[150:151], v[58:59], s[2:3], v[99:100]
	v_fma_f64 v[58:59], v[58:59], s[2:3], -v[99:100]
	v_add_f64_e32 v[99:100], v[52:53], v[118:119]
	v_add_f64_e32 v[118:119], v[52:53], v[120:121]
	;; [unrolled: 1-line block ×12, first 2 shown]
	v_fma_f64 v[128:129], v[105:106], s[14:15], -v[197:198]
	v_add_f64_e32 v[164:165], v[54:55], v[138:139]
	v_add_f64_e32 v[138:139], v[54:55], v[144:145]
	;; [unrolled: 1-line block ×4, first 2 shown]
	v_mul_f64_e32 v[56:57], s[28:29], v[103:104]
	v_add_f64_e32 v[97:98], v[54:55], v[97:98]
	v_add_f64_e32 v[142:143], v[54:55], v[150:151]
	;; [unrolled: 1-line block ×3, first 2 shown]
	v_mul_f64_e32 v[150:151], s[34:35], v[66:67]
	s_mov_b32 s35, 0x3fea55e2
	s_mov_b32 s34, s28
	v_mul_f64_e32 v[66:67], s[24:25], v[66:67]
	s_wait_alu 0xfffe
	v_mul_f64_e32 v[231:232], s[34:35], v[86:87]
	v_mul_f64_e32 v[233:234], s[34:35], v[84:85]
	v_mul_f64_e32 v[86:87], s[36:37], v[86:87]
	v_fma_f64 v[58:59], v[109:110], s[18:19], v[56:57]
	s_delay_alu instid0(VALU_DEP_1) | instskip(SKIP_2) | instid1(VALU_DEP_2)
	v_add_f64_e32 v[58:59], v[58:59], v[60:61]
	v_mul_f64_e32 v[60:61], s[28:29], v[101:102]
	v_mul_f64_e32 v[101:102], s[26:27], v[101:102]
	v_fma_f64 v[116:117], v[148:149], s[18:19], -v[60:61]
	s_delay_alu instid0(VALU_DEP_1) | instskip(SKIP_1) | instid1(VALU_DEP_1)
	v_add_f64_e32 v[97:98], v[116:117], v[97:98]
	v_fma_f64 v[116:117], v[105:106], s[16:17], v[150:151]
	v_add_f64_e32 v[58:59], v[116:117], v[58:59]
	v_fma_f64 v[116:117], v[107:108], s[16:17], -v[166:167]
	s_delay_alu instid0(VALU_DEP_1) | instskip(SKIP_1) | instid1(VALU_DEP_1)
	v_add_f64_e32 v[97:98], v[116:117], v[97:98]
	v_fma_f64 v[116:117], v[72:73], s[14:15], v[168:169]
	v_add_f64_e32 v[58:59], v[116:117], v[58:59]
	;; [unrolled: 5-line block ×4, first 2 shown]
	v_mul_f64_e32 v[58:59], s[30:31], v[84:85]
	s_mov_b32 s31, 0x3fcea1e5
	v_mul_f64_e32 v[84:85], s[36:37], v[84:85]
	s_wait_alu 0xfffe
	v_mul_f64_e32 v[227:228], s[30:31], v[90:91]
	v_mul_f64_e32 v[229:230], s[30:31], v[88:89]
	;; [unrolled: 1-line block ×8, first 2 shown]
	v_fma_f64 v[116:117], v[78:79], s[2:3], -v[58:59]
	v_fma_f64 v[58:59], v[78:79], s[2:3], v[58:59]
	s_delay_alu instid0(VALU_DEP_2) | instskip(SKIP_2) | instid1(VALU_DEP_2)
	v_add_f64_e32 v[126:127], v[116:117], v[97:98]
	v_mul_f64_e32 v[97:98], s[22:23], v[103:104]
	v_mul_f64_e32 v[103:104], s[26:27], v[103:104]
	v_fma_f64 v[116:117], v[109:110], s[14:15], -v[97:98]
	s_delay_alu instid0(VALU_DEP_1) | instskip(SKIP_1) | instid1(VALU_DEP_1)
	v_add_f64_e32 v[116:117], v[116:117], v[118:119]
	v_fma_f64 v[118:119], v[148:149], s[14:15], v[162:163]
	v_add_f64_e32 v[118:119], v[118:119], v[120:121]
	v_fma_f64 v[120:121], v[105:106], s[2:3], -v[179:180]
	s_delay_alu instid0(VALU_DEP_1) | instskip(SKIP_1) | instid1(VALU_DEP_1)
	v_add_f64_e32 v[116:117], v[120:121], v[116:117]
	v_fma_f64 v[120:121], v[107:108], s[2:3], v[181:182]
	v_add_f64_e32 v[118:119], v[120:121], v[118:119]
	;; [unrolled: 5-line block ×5, first 2 shown]
	v_fma_f64 v[120:121], v[109:110], s[2:3], -v[158:159]
	s_delay_alu instid0(VALU_DEP_1) | instskip(SKIP_1) | instid1(VALU_DEP_2)
	v_add_f64_e32 v[120:121], v[120:121], v[122:123]
	v_fma_f64 v[122:123], v[148:149], s[2:3], v[195:196]
	v_add_f64_e32 v[120:121], v[128:129], v[120:121]
	s_delay_alu instid0(VALU_DEP_2) | instskip(SKIP_2) | instid1(VALU_DEP_2)
	v_add_f64_e32 v[122:123], v[122:123], v[130:131]
	v_fma_f64 v[128:129], v[107:108], s[14:15], v[203:204]
	v_fma_f64 v[130:131], v[148:149], s[12:13], v[217:218]
	v_add_f64_e32 v[122:123], v[128:129], v[122:123]
	v_fma_f64 v[128:129], v[72:73], s[20:21], -v[205:206]
	s_delay_alu instid0(VALU_DEP_3) | instskip(SKIP_1) | instid1(VALU_DEP_3)
	v_add_f64_e32 v[130:131], v[130:131], v[138:139]
	v_fma_f64 v[138:139], v[105:106], s[18:19], -v[239:240]
	v_add_f64_e32 v[120:121], v[128:129], v[120:121]
	v_fma_f64 v[128:129], v[74:75], s[20:21], v[207:208]
	s_delay_alu instid0(VALU_DEP_1) | instskip(SKIP_1) | instid1(VALU_DEP_1)
	v_add_f64_e32 v[122:123], v[128:129], v[122:123]
	v_fma_f64 v[128:129], v[80:81], s[18:19], -v[209:210]
	v_add_f64_e32 v[120:121], v[128:129], v[120:121]
	v_fma_f64 v[128:129], v[82:83], s[18:19], v[211:212]
	s_delay_alu instid0(VALU_DEP_1) | instskip(SKIP_1) | instid1(VALU_DEP_1)
	;; [unrolled: 5-line block ×3, first 2 shown]
	v_add_f64_e32 v[122:123], v[128:129], v[122:123]
	v_fma_f64 v[128:129], v[109:110], s[12:13], -v[154:155]
	v_add_f64_e32 v[128:129], v[128:129], v[132:133]
	v_fma_f64 v[132:133], v[105:106], s[20:21], -v[219:220]
	s_delay_alu instid0(VALU_DEP_1) | instskip(SKIP_1) | instid1(VALU_DEP_1)
	v_add_f64_e32 v[128:129], v[132:133], v[128:129]
	v_fma_f64 v[132:133], v[107:108], s[20:21], v[221:222]
	v_add_f64_e32 v[130:131], v[132:133], v[130:131]
	v_fma_f64 v[132:133], v[72:73], s[16:17], -v[223:224]
	s_delay_alu instid0(VALU_DEP_1) | instskip(SKIP_1) | instid1(VALU_DEP_1)
	v_add_f64_e32 v[128:129], v[132:133], v[128:129]
	v_fma_f64 v[132:133], v[74:75], s[16:17], v[225:226]
	;; [unrolled: 5-line block ×4, first 2 shown]
	v_add_f64_e32 v[130:131], v[132:133], v[130:131]
	v_fma_f64 v[132:133], v[109:110], s[16:17], -v[235:236]
	s_delay_alu instid0(VALU_DEP_1) | instskip(SKIP_1) | instid1(VALU_DEP_2)
	v_add_f64_e32 v[132:133], v[132:133], v[134:135]
	v_fma_f64 v[134:135], v[148:149], s[16:17], v[237:238]
	v_add_f64_e32 v[132:133], v[138:139], v[132:133]
	s_delay_alu instid0(VALU_DEP_2) | instskip(SKIP_3) | instid1(VALU_DEP_3)
	v_add_f64_e32 v[134:135], v[134:135], v[140:141]
	v_fma_f64 v[138:139], v[107:108], s[18:19], v[241:242]
	v_fma_f64 v[140:141], v[105:106], s[12:13], -v[66:67]
	v_fma_f64 v[66:67], v[105:106], s[12:13], v[66:67]
	v_add_f64_e32 v[134:135], v[138:139], v[134:135]
	v_fma_f64 v[138:139], v[72:73], s[2:3], -v[243:244]
	s_delay_alu instid0(VALU_DEP_1) | instskip(SKIP_1) | instid1(VALU_DEP_1)
	v_add_f64_e32 v[132:133], v[138:139], v[132:133]
	v_fma_f64 v[138:139], v[74:75], s[2:3], v[245:246]
	v_add_f64_e32 v[134:135], v[138:139], v[134:135]
	v_fma_f64 v[138:139], v[80:81], s[20:21], -v[247:248]
	s_delay_alu instid0(VALU_DEP_1) | instskip(SKIP_1) | instid1(VALU_DEP_1)
	v_add_f64_e32 v[132:133], v[138:139], v[132:133]
	;; [unrolled: 5-line block ×3, first 2 shown]
	v_fma_f64 v[138:139], v[78:79], s[14:15], v[253:254]
	v_add_f64_e32 v[134:135], v[138:139], v[134:135]
	v_fma_f64 v[138:139], v[109:110], s[20:21], -v[103:104]
	v_fma_f64 v[103:104], v[109:110], s[20:21], v[103:104]
	s_delay_alu instid0(VALU_DEP_2) | instskip(SKIP_2) | instid1(VALU_DEP_4)
	v_add_f64_e32 v[136:137], v[138:139], v[136:137]
	v_fma_f64 v[138:139], v[148:149], s[20:21], v[101:102]
	v_fma_f64 v[101:102], v[148:149], s[20:21], -v[101:102]
	v_add_f64_e32 v[52:53], v[103:104], v[52:53]
	s_delay_alu instid0(VALU_DEP_4) | instskip(NEXT) | instid1(VALU_DEP_4)
	v_add_f64_e32 v[136:137], v[140:141], v[136:137]
	v_add_f64_e32 v[138:139], v[138:139], v[142:143]
	v_fma_f64 v[140:141], v[107:108], s[12:13], v[64:65]
	v_add_f64_e32 v[54:55], v[101:102], v[54:55]
	v_fma_f64 v[64:65], v[107:108], s[12:13], -v[64:65]
	v_add_f64_e32 v[52:53], v[66:67], v[52:53]
	v_fma_f64 v[66:67], v[78:79], s[16:17], -v[84:85]
	;; [unrolled: 2-line block ×3, first 2 shown]
	v_add_f64_e32 v[54:55], v[64:65], v[54:55]
	v_fma_f64 v[64:65], v[72:73], s[18:19], v[70:71]
	s_delay_alu instid0(VALU_DEP_3) | instskip(SKIP_1) | instid1(VALU_DEP_3)
	v_add_f64_e32 v[136:137], v[140:141], v[136:137]
	v_fma_f64 v[140:141], v[74:75], s[18:19], v[68:69]
	v_add_f64_e32 v[52:53], v[64:65], v[52:53]
	v_fma_f64 v[64:65], v[74:75], s[18:19], -v[68:69]
	s_delay_alu instid0(VALU_DEP_3) | instskip(SKIP_1) | instid1(VALU_DEP_3)
	v_add_f64_e32 v[138:139], v[140:141], v[138:139]
	v_fma_f64 v[140:141], v[80:81], s[14:15], -v[90:91]
	v_add_f64_e32 v[54:55], v[64:65], v[54:55]
	v_fma_f64 v[64:65], v[80:81], s[14:15], v[90:91]
	s_delay_alu instid0(VALU_DEP_3) | instskip(SKIP_1) | instid1(VALU_DEP_3)
	v_add_f64_e32 v[136:137], v[140:141], v[136:137]
	v_fma_f64 v[140:141], v[82:83], s[14:15], v[88:89]
	v_add_f64_e32 v[52:53], v[64:65], v[52:53]
	v_fma_f64 v[64:65], v[82:83], s[14:15], -v[88:89]
	s_delay_alu instid0(VALU_DEP_3) | instskip(SKIP_1) | instid1(VALU_DEP_3)
	v_add_f64_e32 v[138:139], v[140:141], v[138:139]
	v_fma_f64 v[140:141], v[76:77], s[16:17], -v[86:87]
	v_add_f64_e32 v[54:55], v[64:65], v[54:55]
	v_fma_f64 v[64:65], v[76:77], s[16:17], v[86:87]
	s_delay_alu instid0(VALU_DEP_3) | instskip(SKIP_1) | instid1(VALU_DEP_4)
	v_add_f64_e32 v[136:137], v[140:141], v[136:137]
	v_fma_f64 v[140:141], v[78:79], s[16:17], v[84:85]
	v_add_f64_e32 v[142:143], v[66:67], v[54:55]
	v_fma_f64 v[54:55], v[148:149], s[16:17], -v[237:238]
	v_fma_f64 v[66:67], v[78:79], s[14:15], -v[253:254]
	s_delay_alu instid0(VALU_DEP_4) | instskip(SKIP_4) | instid1(VALU_DEP_3)
	v_add_f64_e32 v[138:139], v[140:141], v[138:139]
	v_add_f64_e32 v[140:141], v[64:65], v[52:53]
	v_fma_f64 v[52:53], v[109:110], s[16:17], v[235:236]
	v_fma_f64 v[64:65], v[105:106], s[18:19], v[239:240]
	v_add_f64_e32 v[54:55], v[54:55], v[146:147]
	v_add_f64_e32 v[52:53], v[52:53], v[144:145]
	s_delay_alu instid0(VALU_DEP_1) | instskip(SKIP_1) | instid1(VALU_DEP_1)
	v_add_f64_e32 v[52:53], v[64:65], v[52:53]
	v_fma_f64 v[64:65], v[107:108], s[18:19], -v[241:242]
	v_add_f64_e32 v[54:55], v[64:65], v[54:55]
	v_fma_f64 v[64:65], v[72:73], s[2:3], v[243:244]
	s_delay_alu instid0(VALU_DEP_1) | instskip(SKIP_1) | instid1(VALU_DEP_1)
	v_add_f64_e32 v[52:53], v[64:65], v[52:53]
	v_fma_f64 v[64:65], v[74:75], s[2:3], -v[245:246]
	v_add_f64_e32 v[54:55], v[64:65], v[54:55]
	v_fma_f64 v[64:65], v[80:81], s[20:21], v[247:248]
	;; [unrolled: 5-line block ×3, first 2 shown]
	s_delay_alu instid0(VALU_DEP_2) | instskip(NEXT) | instid1(VALU_DEP_2)
	v_add_f64_e32 v[146:147], v[66:67], v[54:55]
	v_add_f64_e32 v[144:145], v[64:65], v[52:53]
	v_fma_f64 v[52:53], v[109:110], s[12:13], v[154:155]
	v_fma_f64 v[54:55], v[148:149], s[12:13], -v[217:218]
	v_fma_f64 v[64:65], v[105:106], s[20:21], v[219:220]
	v_fma_f64 v[66:67], v[78:79], s[18:19], -v[233:234]
	s_delay_alu instid0(VALU_DEP_4) | instskip(NEXT) | instid1(VALU_DEP_4)
	v_add_f64_e32 v[52:53], v[52:53], v[95:96]
	v_add_f64_e32 v[54:55], v[54:55], v[152:153]
	s_delay_alu instid0(VALU_DEP_2) | instskip(SKIP_1) | instid1(VALU_DEP_1)
	v_add_f64_e32 v[52:53], v[64:65], v[52:53]
	v_fma_f64 v[64:65], v[107:108], s[20:21], -v[221:222]
	v_add_f64_e32 v[54:55], v[64:65], v[54:55]
	v_fma_f64 v[64:65], v[72:73], s[16:17], v[223:224]
	s_delay_alu instid0(VALU_DEP_1) | instskip(SKIP_1) | instid1(VALU_DEP_1)
	v_add_f64_e32 v[52:53], v[64:65], v[52:53]
	v_fma_f64 v[64:65], v[74:75], s[16:17], -v[225:226]
	v_add_f64_e32 v[54:55], v[64:65], v[54:55]
	v_fma_f64 v[64:65], v[80:81], s[2:3], v[227:228]
	s_delay_alu instid0(VALU_DEP_1) | instskip(SKIP_1) | instid1(VALU_DEP_1)
	v_add_f64_e32 v[52:53], v[64:65], v[52:53]
	v_fma_f64 v[64:65], v[82:83], s[2:3], -v[229:230]
	v_add_f64_e32 v[54:55], v[64:65], v[54:55]
	v_fma_f64 v[64:65], v[76:77], s[18:19], v[231:232]
	s_delay_alu instid0(VALU_DEP_2) | instskip(NEXT) | instid1(VALU_DEP_2)
	v_add_f64_e32 v[154:155], v[66:67], v[54:55]
	v_add_f64_e32 v[152:153], v[64:65], v[52:53]
	v_fma_f64 v[52:53], v[109:110], s[2:3], v[158:159]
	v_fma_f64 v[54:55], v[148:149], s[2:3], -v[195:196]
	v_fma_f64 v[64:65], v[105:106], s[14:15], v[197:198]
	v_fma_f64 v[66:67], v[78:79], s[12:13], -v[215:216]
	s_delay_alu instid0(VALU_DEP_4) | instskip(NEXT) | instid1(VALU_DEP_4)
	v_add_f64_e32 v[52:53], v[52:53], v[93:94]
	v_add_f64_e32 v[54:55], v[54:55], v[156:157]
	s_delay_alu instid0(VALU_DEP_2) | instskip(SKIP_2) | instid1(VALU_DEP_2)
	v_add_f64_e32 v[52:53], v[64:65], v[52:53]
	v_fma_f64 v[64:65], v[107:108], s[14:15], -v[203:204]
	v_add_lshl_u32 v203, v92, v0, 4
	v_add_f64_e32 v[54:55], v[64:65], v[54:55]
	v_fma_f64 v[64:65], v[72:73], s[20:21], v[205:206]
	s_delay_alu instid0(VALU_DEP_1) | instskip(SKIP_1) | instid1(VALU_DEP_1)
	v_add_f64_e32 v[52:53], v[64:65], v[52:53]
	v_fma_f64 v[64:65], v[74:75], s[20:21], -v[207:208]
	v_add_f64_e32 v[54:55], v[64:65], v[54:55]
	v_fma_f64 v[64:65], v[80:81], s[18:19], v[209:210]
	s_delay_alu instid0(VALU_DEP_1) | instskip(SKIP_1) | instid1(VALU_DEP_1)
	v_add_f64_e32 v[52:53], v[64:65], v[52:53]
	v_fma_f64 v[64:65], v[82:83], s[18:19], -v[211:212]
	v_add_f64_e32 v[54:55], v[64:65], v[54:55]
	v_fma_f64 v[64:65], v[76:77], s[12:13], v[213:214]
	s_delay_alu instid0(VALU_DEP_2) | instskip(NEXT) | instid1(VALU_DEP_2)
	v_add_f64_e32 v[158:159], v[66:67], v[54:55]
	v_add_f64_e32 v[156:157], v[64:65], v[52:53]
	v_fma_f64 v[52:53], v[109:110], s[14:15], v[97:98]
	v_fma_f64 v[54:55], v[148:149], s[14:15], -v[162:163]
	v_fma_f64 v[64:65], v[78:79], s[20:21], -v[193:194]
	s_delay_alu instid0(VALU_DEP_3) | instskip(SKIP_1) | instid1(VALU_DEP_4)
	v_add_f64_e32 v[52:53], v[52:53], v[62:63]
	v_fma_f64 v[62:63], v[105:106], s[2:3], v[179:180]
	v_add_f64_e32 v[54:55], v[54:55], v[160:161]
	s_delay_alu instid0(VALU_DEP_2) | instskip(SKIP_1) | instid1(VALU_DEP_1)
	v_add_f64_e32 v[52:53], v[62:63], v[52:53]
	v_fma_f64 v[62:63], v[107:108], s[2:3], -v[181:182]
	v_add_f64_e32 v[54:55], v[62:63], v[54:55]
	v_fma_f64 v[62:63], v[72:73], s[12:13], v[183:184]
	s_delay_alu instid0(VALU_DEP_1) | instskip(SKIP_1) | instid1(VALU_DEP_1)
	v_add_f64_e32 v[52:53], v[62:63], v[52:53]
	v_fma_f64 v[62:63], v[74:75], s[12:13], -v[185:186]
	v_add_f64_e32 v[54:55], v[62:63], v[54:55]
	v_fma_f64 v[62:63], v[80:81], s[16:17], v[187:188]
	s_delay_alu instid0(VALU_DEP_1) | instskip(SKIP_1) | instid1(VALU_DEP_1)
	v_add_f64_e32 v[52:53], v[62:63], v[52:53]
	v_fma_f64 v[62:63], v[82:83], s[16:17], -v[189:190]
	v_add_f64_e32 v[54:55], v[62:63], v[54:55]
	v_fma_f64 v[62:63], v[76:77], s[20:21], v[191:192]
	s_delay_alu instid0(VALU_DEP_2) | instskip(NEXT) | instid1(VALU_DEP_2)
	v_add_f64_e32 v[162:163], v[64:65], v[54:55]
	v_add_f64_e32 v[160:161], v[62:63], v[52:53]
	v_fma_f64 v[52:53], v[109:110], s[18:19], -v[56:57]
	v_fma_f64 v[54:55], v[148:149], s[18:19], v[60:61]
	v_fma_f64 v[56:57], v[105:106], s[16:17], -v[150:151]
	v_fma_f64 v[60:61], v[107:108], s[16:17], v[166:167]
	;; [unrolled: 2-line block ×3, first 2 shown]
                                        ; implicit-def: $vgpr168_vgpr169
	v_add_f64_e32 v[52:53], v[52:53], v[99:100]
	v_add_f64_e32 v[54:55], v[54:55], v[164:165]
                                        ; implicit-def: $vgpr164_vgpr165
	s_delay_alu instid0(VALU_DEP_2) | instskip(NEXT) | instid1(VALU_DEP_2)
	v_add_f64_e32 v[52:53], v[56:57], v[52:53]
	v_add_f64_e32 v[54:55], v[60:61], v[54:55]
	v_fma_f64 v[56:57], v[80:81], s[12:13], -v[172:173]
	v_fma_f64 v[60:61], v[82:83], s[12:13], v[174:175]
                                        ; implicit-def: $vgpr172_vgpr173
	s_delay_alu instid0(VALU_DEP_4) | instskip(NEXT) | instid1(VALU_DEP_4)
	v_add_f64_e32 v[52:53], v[62:63], v[52:53]
	v_add_f64_e32 v[54:55], v[64:65], v[54:55]
	v_fma_f64 v[62:63], v[76:77], s[2:3], -v[177:178]
	s_load_b64 s[2:3], s[0:1], 0x38
	v_add_co_u32 v177, s0, s8, v202
	s_wait_alu 0xf1ff
	v_add_co_ci_u32_e64 v178, null, s9, 0, s0
	v_add_f64_e32 v[52:53], v[56:57], v[52:53]
	v_add_f64_e32 v[54:55], v[60:61], v[54:55]
	s_delay_alu instid0(VALU_DEP_2) | instskip(NEXT) | instid1(VALU_DEP_2)
	v_add_f64_e32 v[148:149], v[62:63], v[52:53]
	v_add_f64_e32 v[150:151], v[58:59], v[54:55]
	ds_store_b128 v203, v[116:119] offset:32
	ds_store_b128 v203, v[120:123] offset:48
	;; [unrolled: 1-line block ×12, first 2 shown]
	ds_store_b128 v203, v[112:115]
	global_wb scope:SCOPE_SE
	s_wait_dscnt 0x0
	s_wait_kmcnt 0x0
	s_barrier_signal -1
	s_barrier_wait -1
	global_inv scope:SCOPE_SE
	s_and_saveexec_b32 s0, vcc_lo
	s_cbranch_execz .LBB0_3
; %bb.2:
	ds_load_b128 v[112:115], v2
	ds_load_b128 v[148:151], v200 offset:208
	ds_load_b128 v[116:119], v200 offset:416
	;; [unrolled: 1-line block ×15, first 2 shown]
.LBB0_3:
	s_wait_alu 0xfffe
	s_or_b32 exec_lo, exec_lo, s0
	v_add_nc_u32_e32 v0, -13, v199
	s_mov_b32 s12, 0xa6aea964
	s_mov_b32 s14, 0xcf328d46
	s_mov_b32 s13, 0x3fd87de2
	s_mov_b32 s15, 0xbfed906b
	v_cndmask_b32_e32 v0, v0, v199, vcc_lo
	s_mov_b32 s17, 0x3fed906b
	s_wait_alu 0xfffe
	s_mov_b32 s16, s14
	s_mov_b32 s19, 0xbfd87de2
	;; [unrolled: 1-line block ×3, first 2 shown]
	v_mul_i32_i24_e32 v1, 0xf0, v0
	v_mul_hi_i32_i24_e32 v0, 0xf0, v0
	s_delay_alu instid0(VALU_DEP_2) | instskip(SKIP_1) | instid1(VALU_DEP_2)
	v_add_co_u32 v104, s0, s10, v1
	s_wait_alu 0xf1ff
	v_add_co_ci_u32_e64 v105, s0, s11, v0, s0
	s_mov_b32 s0, 0x667f3bcd
	s_mov_b32 s1, 0xbfe6a09e
	;; [unrolled: 1-line block ×3, first 2 shown]
	s_clause 0xe
	global_load_b128 v[3:6], v[104:105], off
	global_load_b128 v[15:18], v[104:105], off offset:16
	global_load_b128 v[11:14], v[104:105], off offset:32
	;; [unrolled: 1-line block ×14, first 2 shown]
	s_wait_alu 0xfffe
	s_mov_b32 s10, s0
	s_wait_loadcnt_dscnt 0xe0e
	v_mul_f64_e32 v[179:180], v[150:151], v[5:6]
	v_mul_f64_e32 v[181:182], v[148:149], v[5:6]
	s_wait_loadcnt_dscnt 0xd0d
	v_mul_f64_e32 v[183:184], v[118:119], v[17:18]
	v_mul_f64_e32 v[185:186], v[116:117], v[17:18]
	;; [unrolled: 3-line block ×9, first 2 shown]
	s_wait_loadcnt 0x5
	v_mul_f64_e32 v[220:221], v[158:159], v[90:91]
	v_mul_f64_e32 v[222:223], v[156:157], v[90:91]
	s_wait_loadcnt_dscnt 0x401
	v_mul_f64_e32 v[224:225], v[170:171], v[110:111]
	v_mul_f64_e32 v[226:227], v[168:169], v[110:111]
	s_wait_loadcnt 0x3
	v_mul_f64_e32 v[228:229], v[154:155], v[94:95]
	v_mul_f64_e32 v[230:231], v[152:153], v[94:95]
	s_wait_loadcnt 0x2
	v_mul_f64_e32 v[232:233], v[166:167], v[98:99]
	v_mul_f64_e32 v[234:235], v[164:165], v[98:99]
	s_wait_loadcnt 0x1
	v_mul_f64_e32 v[236:237], v[162:163], v[102:103]
	v_mul_f64_e32 v[238:239], v[160:161], v[102:103]
	s_wait_loadcnt_dscnt 0x0
	v_mul_f64_e32 v[240:241], v[172:173], v[106:107]
	v_mul_f64_e32 v[242:243], v[174:175], v[106:107]
	s_clause 0x4
	scratch_store_b128 off, v[3:6], off offset:208
	scratch_store_b128 off, v[7:10], off offset:224
	;; [unrolled: 1-line block ×5, first 2 shown]
	v_fma_f64 v[148:149], v[148:149], v[3:4], -v[179:180]
	v_fma_f64 v[179:180], v[150:151], v[3:4], v[181:182]
	v_fma_f64 v[116:117], v[116:117], v[15:16], -v[183:184]
	v_fma_f64 v[118:119], v[118:119], v[15:16], v[185:186]
	;; [unrolled: 2-line block ×14, first 2 shown]
	v_fma_f64 v[168:169], v[174:175], v[104:105], v[240:241]
	v_fma_f64 v[170:171], v[172:173], v[104:105], -v[242:243]
	v_add_f64_e64 v[183:184], v[112:113], -v[138:139]
	v_add_f64_e64 v[144:145], v[114:115], -v[144:145]
	;; [unrolled: 1-line block ×16, first 2 shown]
	v_fma_f64 v[156:157], v[112:113], 2.0, -v[183:184]
	v_fma_f64 v[170:171], v[114:115], 2.0, -v[144:145]
	v_add_f64_e32 v[138:139], v[144:145], v[172:173]
	v_add_f64_e64 v[124:125], v[183:184], -v[126:127]
	v_fma_f64 v[112:113], v[128:129], 2.0, -v[172:173]
	v_fma_f64 v[114:115], v[130:131], 2.0, -v[126:127]
	v_add_f64_e32 v[204:205], v[185:186], v[174:175]
	v_add_f64_e64 v[197:198], v[146:147], -v[158:159]
	;; [unrolled: 4-line block ×3, first 2 shown]
	v_fma_f64 v[116:117], v[136:137], 2.0, -v[174:175]
	v_fma_f64 v[118:119], v[181:182], 2.0, -v[158:159]
	v_add_f64_e64 v[206:207], v[160:161], -v[193:194]
	v_add_f64_e32 v[208:209], v[191:192], v[195:196]
	v_fma_f64 v[174:175], v[148:149], 2.0, -v[187:188]
	v_fma_f64 v[162:163], v[179:180], 2.0, -v[189:190]
	;; [unrolled: 1-line block ×10, first 2 shown]
	v_add_f64_e64 v[158:159], v[170:171], -v[114:115]
	v_fma_f64 v[132:133], v[185:186], 2.0, -v[204:205]
	v_fma_f64 v[144:145], v[146:147], 2.0, -v[197:198]
	v_add_f64_e64 v[146:147], v[156:157], -v[112:113]
	s_wait_alu 0xfffe
	v_fma_f64 v[112:113], v[197:198], s[10:11], v[124:125]
	v_fma_f64 v[148:149], v[189:190], 2.0, -v[152:153]
	v_fma_f64 v[142:143], v[187:188], 2.0, -v[150:151]
	v_add_f64_e64 v[183:184], v[154:155], -v[116:117]
	v_add_f64_e64 v[193:194], v[172:173], -v[118:119]
	v_fma_f64 v[181:182], v[160:161], 2.0, -v[206:207]
	v_fma_f64 v[179:180], v[191:192], 2.0, -v[208:209]
	v_fma_f64 v[114:115], v[204:205], s[10:11], v[138:139]
	v_fma_f64 v[116:117], v[206:207], s[10:11], v[150:151]
	v_add_f64_e64 v[160:161], v[174:175], -v[126:127]
	v_add_f64_e64 v[166:167], v[162:163], -v[128:129]
	v_fma_f64 v[212:213], v[208:209], s[10:11], v[152:153]
	v_add_f64_e64 v[189:190], v[164:165], -v[120:121]
	v_add_f64_e64 v[191:192], v[168:169], -v[122:123]
	v_fma_f64 v[120:121], v[132:133], s[0:1], v[140:141]
	v_fma_f64 v[118:119], v[144:145], s[0:1], v[130:131]
	v_fma_f64 v[128:129], v[204:205], s[0:1], v[112:113]
	v_add_f64_e32 v[134:135], v[158:159], v[183:184]
	v_add_f64_e64 v[126:127], v[146:147], -v[193:194]
	v_fma_f64 v[122:123], v[181:182], s[0:1], v[142:143]
	v_fma_f64 v[210:211], v[179:180], s[0:1], v[148:149]
	;; [unrolled: 1-line block ×5, first 2 shown]
	v_add_f64_e32 v[187:188], v[166:167], v[189:190]
	v_add_f64_e64 v[185:186], v[160:161], -v[191:192]
	v_fma_f64 v[144:145], v[144:145], s[10:11], v[120:121]
	v_fma_f64 v[132:133], v[132:133], s[0:1], v[118:119]
	;; [unrolled: 1-line block ×16, first 2 shown]
	s_and_saveexec_b32 s20, vcc_lo
	s_cbranch_execz .LBB0_5
; %bb.4:
	v_fma_f64 v[170:171], v[170:171], 2.0, -v[158:159]
	v_fma_f64 v[172:173], v[172:173], 2.0, -v[193:194]
	;; [unrolled: 1-line block ×23, first 2 shown]
	v_add_f64_e64 v[172:173], v[170:171], -v[172:173]
	v_add_f64_e64 v[168:169], v[162:163], -v[168:169]
	;; [unrolled: 1-line block ×4, first 2 shown]
	v_fma_f64 v[130:131], v[138:139], s[18:19], v[183:184]
	v_fma_f64 v[154:155], v[181:182], s[14:15], v[185:186]
	;; [unrolled: 1-line block ×5, first 2 shown]
	v_fma_f64 v[170:171], v[170:171], 2.0, -v[172:173]
	v_fma_f64 v[158:159], v[162:163], 2.0, -v[168:169]
	;; [unrolled: 1-line block ×4, first 2 shown]
	v_fma_f64 v[174:175], v[142:143], s[14:15], v[179:180]
	v_fma_f64 v[148:149], v[150:151], s[16:17], v[130:131]
	v_add_f64_e32 v[140:141], v[172:173], v[140:141]
	v_fma_f64 v[130:131], v[136:137], 2.0, -v[122:123]
	v_fma_f64 v[156:157], v[142:143], s[12:13], v[154:155]
	v_fma_f64 v[142:143], v[132:133], 2.0, -v[112:113]
	v_fma_f64 v[132:133], v[126:127], 2.0, -v[116:117]
	v_fma_f64 v[152:153], v[152:153], s[10:11], v[146:147]
	v_fma_f64 v[150:151], v[166:167], s[0:1], v[193:194]
	;; [unrolled: 1-line block ×3, first 2 shown]
	v_add_f64_e64 v[138:139], v[187:188], -v[168:169]
	v_add_f64_e64 v[160:161], v[170:171], -v[158:159]
	v_add_f64_e64 v[158:159], v[162:163], -v[164:165]
	v_fma_f64 v[154:155], v[181:182], s[18:19], v[174:175]
	v_fma_f64 v[168:169], v[183:184], 2.0, -v[148:149]
	v_fma_f64 v[164:165], v[172:173], 2.0, -v[140:141]
	;; [unrolled: 1-line block ×10, first 2 shown]
	ds_store_b128 v2, v[183:186]
	ds_store_b128 v200, v[179:182] offset:208
	ds_store_b128 v200, v[170:173] offset:416
	;; [unrolled: 1-line block ×15, first 2 shown]
.LBB0_5:
	s_wait_alu 0xfffe
	s_or_b32 exec_lo, exec_lo, s20
	global_wb scope:SCOPE_SE
	s_wait_storecnt_dscnt 0x0
	s_barrier_signal -1
	s_barrier_wait -1
	global_inv scope:SCOPE_SE
	global_load_b128 v[124:127], v[177:178], off offset:3328
	s_add_nc_u64 s[0:1], s[8:9], 0xd00
	s_clause 0x5
	global_load_b128 v[128:131], v202, s[0:1] offset:256
	global_load_b128 v[132:135], v202, s[0:1] offset:512
	;; [unrolled: 1-line block ×6, first 2 shown]
	ds_load_b128 v[152:155], v2
	s_mov_b32 s42, 0x4267c47c
	s_mov_b32 s24, 0x42a4c3d2
	;; [unrolled: 1-line block ×25, first 2 shown]
	s_wait_alu 0xfffe
	s_mov_b32 s36, s24
	s_mov_b32 s34, s40
	;; [unrolled: 1-line block ×9, first 2 shown]
	s_wait_loadcnt_dscnt 0x600
	v_mul_f64_e32 v[156:157], v[154:155], v[126:127]
	v_mul_f64_e32 v[126:127], v[152:153], v[126:127]
	s_delay_alu instid0(VALU_DEP_2) | instskip(NEXT) | instid1(VALU_DEP_2)
	v_fma_f64 v[152:153], v[152:153], v[124:125], -v[156:157]
	v_fma_f64 v[154:155], v[154:155], v[124:125], v[126:127]
	ds_store_b128 v2, v[152:155]
	ds_load_b128 v[124:127], v200 offset:256
	ds_load_b128 v[152:155], v200 offset:512
	s_wait_loadcnt_dscnt 0x501
	v_mul_f64_e32 v[156:157], v[126:127], v[130:131]
	v_mul_f64_e32 v[130:131], v[124:125], v[130:131]
	s_wait_loadcnt_dscnt 0x400
	v_mul_f64_e32 v[158:159], v[154:155], v[134:135]
	v_mul_f64_e32 v[134:135], v[152:153], v[134:135]
	s_delay_alu instid0(VALU_DEP_4) | instskip(NEXT) | instid1(VALU_DEP_4)
	v_fma_f64 v[124:125], v[124:125], v[128:129], -v[156:157]
	v_fma_f64 v[126:127], v[126:127], v[128:129], v[130:131]
	ds_load_b128 v[128:131], v200 offset:768
	v_fma_f64 v[152:153], v[152:153], v[132:133], -v[158:159]
	v_fma_f64 v[154:155], v[154:155], v[132:133], v[134:135]
	ds_load_b128 v[132:135], v200 offset:1024
	s_wait_loadcnt_dscnt 0x301
	v_mul_f64_e32 v[156:157], v[130:131], v[138:139]
	v_mul_f64_e32 v[138:139], v[128:129], v[138:139]
	s_wait_loadcnt_dscnt 0x200
	v_mul_f64_e32 v[158:159], v[134:135], v[142:143]
	v_mul_f64_e32 v[142:143], v[132:133], v[142:143]
	s_delay_alu instid0(VALU_DEP_4) | instskip(NEXT) | instid1(VALU_DEP_4)
	v_fma_f64 v[128:129], v[128:129], v[136:137], -v[156:157]
	v_fma_f64 v[130:131], v[130:131], v[136:137], v[138:139]
	ds_load_b128 v[136:139], v200 offset:1280
	v_fma_f64 v[132:133], v[132:133], v[140:141], -v[158:159]
	v_fma_f64 v[134:135], v[134:135], v[140:141], v[142:143]
	ds_load_b128 v[140:143], v200 offset:1536
	s_wait_loadcnt_dscnt 0x101
	v_mul_f64_e32 v[156:157], v[138:139], v[146:147]
	v_mul_f64_e32 v[146:147], v[136:137], v[146:147]
	s_wait_loadcnt_dscnt 0x0
	v_mul_f64_e32 v[158:159], v[142:143], v[150:151]
	v_mul_f64_e32 v[150:151], v[140:141], v[150:151]
	s_delay_alu instid0(VALU_DEP_4) | instskip(NEXT) | instid1(VALU_DEP_4)
	v_fma_f64 v[136:137], v[136:137], v[144:145], -v[156:157]
	v_fma_f64 v[138:139], v[138:139], v[144:145], v[146:147]
	global_load_b128 v[144:147], v202, s[0:1] offset:1792
	v_fma_f64 v[140:141], v[140:141], v[148:149], -v[158:159]
	v_fma_f64 v[142:143], v[142:143], v[148:149], v[150:151]
	global_load_b128 v[148:151], v202, s[0:1] offset:2048
	ds_load_b128 v[156:159], v200 offset:1792
	ds_load_b128 v[160:163], v200 offset:2048
	s_wait_loadcnt_dscnt 0x101
	v_mul_f64_e32 v[164:165], v[158:159], v[146:147]
	v_mul_f64_e32 v[146:147], v[156:157], v[146:147]
	s_delay_alu instid0(VALU_DEP_2) | instskip(NEXT) | instid1(VALU_DEP_2)
	v_fma_f64 v[156:157], v[156:157], v[144:145], -v[164:165]
	v_fma_f64 v[158:159], v[158:159], v[144:145], v[146:147]
	s_wait_loadcnt_dscnt 0x0
	v_mul_f64_e32 v[144:145], v[162:163], v[150:151]
	v_mul_f64_e32 v[146:147], v[160:161], v[150:151]
	s_delay_alu instid0(VALU_DEP_2) | instskip(NEXT) | instid1(VALU_DEP_2)
	v_fma_f64 v[144:145], v[160:161], v[148:149], -v[144:145]
	v_fma_f64 v[146:147], v[162:163], v[148:149], v[146:147]
	s_clause 0x1
	global_load_b128 v[148:151], v202, s[0:1] offset:2304
	global_load_b128 v[160:163], v202, s[0:1] offset:2560
	ds_load_b128 v[164:167], v200 offset:2304
	ds_load_b128 v[168:171], v200 offset:2560
	s_wait_loadcnt_dscnt 0x101
	v_mul_f64_e32 v[172:173], v[166:167], v[150:151]
	v_mul_f64_e32 v[150:151], v[164:165], v[150:151]
	s_delay_alu instid0(VALU_DEP_2) | instskip(NEXT) | instid1(VALU_DEP_2)
	v_fma_f64 v[164:165], v[164:165], v[148:149], -v[172:173]
	v_fma_f64 v[166:167], v[166:167], v[148:149], v[150:151]
	s_wait_loadcnt_dscnt 0x0
	v_mul_f64_e32 v[148:149], v[170:171], v[162:163]
	v_mul_f64_e32 v[150:151], v[168:169], v[162:163]
	s_delay_alu instid0(VALU_DEP_2) | instskip(NEXT) | instid1(VALU_DEP_2)
	v_fma_f64 v[148:149], v[168:169], v[160:161], -v[148:149]
	v_fma_f64 v[150:151], v[170:171], v[160:161], v[150:151]
	s_clause 0x1
	global_load_b128 v[160:163], v202, s[0:1] offset:2816
	global_load_b128 v[168:171], v202, s[0:1] offset:3072
	ds_load_b128 v[172:175], v200 offset:2816
	ds_load_b128 v[177:180], v200 offset:3072
	s_mov_b32 s0, 0x93053d00
	s_mov_b32 s1, 0xbfef11f4
	s_wait_loadcnt_dscnt 0x101
	v_mul_f64_e32 v[181:182], v[174:175], v[162:163]
	v_mul_f64_e32 v[162:163], v[172:173], v[162:163]
	s_delay_alu instid0(VALU_DEP_2) | instskip(NEXT) | instid1(VALU_DEP_2)
	v_fma_f64 v[172:173], v[172:173], v[160:161], -v[181:182]
	v_fma_f64 v[174:175], v[174:175], v[160:161], v[162:163]
	s_wait_loadcnt_dscnt 0x0
	v_mul_f64_e32 v[160:161], v[179:180], v[170:171]
	v_mul_f64_e32 v[162:163], v[177:178], v[170:171]
	s_delay_alu instid0(VALU_DEP_2) | instskip(NEXT) | instid1(VALU_DEP_2)
	v_fma_f64 v[160:161], v[177:178], v[168:169], -v[160:161]
	v_fma_f64 v[162:163], v[179:180], v[168:169], v[162:163]
	ds_store_b128 v200, v[124:127] offset:256
	ds_store_b128 v200, v[152:155] offset:512
	;; [unrolled: 1-line block ×12, first 2 shown]
	global_wb scope:SCOPE_SE
	s_wait_dscnt 0x0
	s_barrier_signal -1
	s_barrier_wait -1
	global_inv scope:SCOPE_SE
	ds_load_b128 v[124:127], v2
	ds_load_b128 v[128:131], v200 offset:256
	ds_load_b128 v[132:135], v200 offset:512
	;; [unrolled: 1-line block ×3, first 2 shown]
	s_wait_dscnt 0x2
	v_add_f64_e32 v[140:141], v[124:125], v[128:129]
	v_add_f64_e32 v[142:143], v[126:127], v[130:131]
	s_wait_dscnt 0x1
	s_delay_alu instid0(VALU_DEP_2) | instskip(NEXT) | instid1(VALU_DEP_2)
	v_add_f64_e32 v[140:141], v[140:141], v[132:133]
	v_add_f64_e32 v[142:143], v[142:143], v[134:135]
	s_wait_dscnt 0x0
	s_delay_alu instid0(VALU_DEP_2) | instskip(NEXT) | instid1(VALU_DEP_2)
	v_add_f64_e32 v[148:149], v[140:141], v[136:137]
	v_add_f64_e32 v[150:151], v[142:143], v[138:139]
	ds_load_b128 v[140:143], v200 offset:1024
	ds_load_b128 v[144:147], v200 offset:1280
	s_wait_dscnt 0x1
	v_add_f64_e32 v[148:149], v[148:149], v[140:141]
	v_add_f64_e32 v[150:151], v[150:151], v[142:143]
	s_wait_dscnt 0x0
	s_delay_alu instid0(VALU_DEP_2) | instskip(NEXT) | instid1(VALU_DEP_2)
	v_add_f64_e32 v[148:149], v[148:149], v[144:145]
	v_add_f64_e32 v[158:159], v[150:151], v[146:147]
	ds_load_b128 v[150:153], v200 offset:1536
	ds_load_b128 v[154:157], v200 offset:1792
	s_wait_dscnt 0x0
	v_add_f64_e32 v[160:161], v[150:151], v[154:155]
	v_add_f64_e64 v[162:163], v[150:151], -v[154:155]
	v_add_f64_e32 v[164:165], v[148:149], v[150:151]
	v_add_f64_e32 v[158:159], v[158:159], v[152:153]
	;; [unrolled: 1-line block ×3, first 2 shown]
	v_add_f64_e64 v[150:151], v[152:153], -v[156:157]
	s_delay_alu instid0(VALU_DEP_4) | instskip(NEXT) | instid1(VALU_DEP_4)
	v_add_f64_e32 v[164:165], v[164:165], v[154:155]
	v_add_f64_e32 v[166:167], v[158:159], v[156:157]
	ds_load_b128 v[152:155], v200 offset:2048
	ds_load_b128 v[156:159], v200 offset:2304
	v_mul_f64_e32 v[250:251], s[18:19], v[150:151]
	s_wait_alu 0xfffe
	v_mul_f64_e32 v[252:253], s[0:1], v[148:149]
	v_mul_f64_e32 v[32:33], s[8:9], v[148:149]
	;; [unrolled: 1-line block ×4, first 2 shown]
	s_wait_dscnt 0x1
	v_add_f64_e32 v[177:178], v[144:145], v[152:153]
	v_add_f64_e32 v[168:169], v[146:147], v[154:155]
	v_add_f64_e64 v[179:180], v[144:145], -v[152:153]
	v_add_f64_e64 v[170:171], v[146:147], -v[154:155]
	s_wait_dscnt 0x0
	v_add_f64_e32 v[181:182], v[140:141], v[156:157]
	v_add_f64_e64 v[183:184], v[140:141], -v[156:157]
	v_add_f64_e32 v[144:145], v[164:165], v[152:153]
	v_add_f64_e32 v[146:147], v[166:167], v[154:155]
	v_add_f64_e32 v[152:153], v[142:143], v[158:159]
	v_add_f64_e64 v[154:155], v[142:143], -v[158:159]
	v_fma_f64 v[34:35], v[162:163], s[28:29], v[32:33]
	v_fma_f64 v[50:51], v[160:161], s[14:15], v[48:49]
	;; [unrolled: 1-line block ×3, first 2 shown]
	v_mul_f64_e32 v[248:249], s[8:9], v[168:169]
	v_mul_f64_e32 v[12:13], s[12:13], v[168:169]
	;; [unrolled: 1-line block ×6, first 2 shown]
	v_add_f64_e32 v[156:157], v[144:145], v[156:157]
	v_add_f64_e32 v[158:159], v[146:147], v[158:159]
	ds_load_b128 v[140:143], v200 offset:2560
	ds_load_b128 v[144:147], v200 offset:2816
	v_mul_f64_e32 v[242:243], s[20:21], v[154:155]
	v_mul_f64_e32 v[244:245], s[10:11], v[152:153]
	v_mul_f64_e32 v[8:9], s[8:9], v[152:153]
	v_mul_f64_e32 v[4:5], s[28:29], v[154:155]
	v_mul_f64_e32 v[24:25], s[16:17], v[152:153]
	v_mul_f64_e32 v[40:41], s[40:41], v[154:155]
	v_mul_f64_e32 v[56:57], s[22:23], v[154:155]
	s_wait_dscnt 0x1
	v_add_f64_e32 v[185:186], v[136:137], v[140:141]
	v_add_f64_e32 v[164:165], v[138:139], v[142:143]
	v_add_f64_e64 v[187:188], v[136:137], -v[140:141]
	v_add_f64_e64 v[166:167], v[138:139], -v[142:143]
	s_wait_dscnt 0x0
	v_add_f64_e32 v[189:190], v[132:133], v[144:145]
	v_add_f64_e64 v[191:192], v[132:133], -v[144:145]
	v_fma_f64 v[14:15], v[179:180], s[40:41], v[12:13]
	v_fma_f64 v[30:31], v[179:180], s[36:37], v[28:29]
	;; [unrolled: 1-line block ×4, first 2 shown]
	v_add_f64_e32 v[136:137], v[156:157], v[140:141]
	v_add_f64_e32 v[138:139], v[158:159], v[142:143]
	;; [unrolled: 1-line block ×3, first 2 shown]
	v_add_f64_e64 v[158:159], v[134:135], -v[146:147]
	ds_load_b128 v[132:135], v200 offset:3072
	v_fma_f64 v[10:11], v[183:184], s[26:27], v[8:9]
	v_fma_f64 v[6:7], v[181:182], s[8:9], v[4:5]
	;; [unrolled: 1-line block ×5, first 2 shown]
	v_fma_f64 v[4:5], v[181:182], s[8:9], -v[4:5]
	global_wb scope:SCOPE_SE
	s_wait_dscnt 0x0
	s_barrier_signal -1
	s_barrier_wait -1
	global_inv scope:SCOPE_SE
	v_mul_f64_e32 v[240:241], s[12:13], v[164:165]
	v_mul_f64_e32 v[0:1], s[0:1], v[164:165]
	v_add_f64_e64 v[140:141], v[130:131], -v[134:135]
	v_add_f64_e32 v[142:143], v[130:131], v[134:135]
	v_mul_f64_e32 v[238:239], s[40:41], v[166:167]
	v_mul_f64_e32 v[20:21], s[10:11], v[164:165]
	;; [unrolled: 1-line block ×5, first 2 shown]
	v_add_f64_e32 v[136:137], v[136:137], v[144:145]
	v_add_f64_e32 v[138:139], v[138:139], v[146:147]
	;; [unrolled: 1-line block ×3, first 2 shown]
	v_add_f64_e64 v[146:147], v[128:129], -v[132:133]
	v_mul_f64_e32 v[234:235], s[24:25], v[158:159]
	v_mul_f64_e32 v[236:237], s[14:15], v[156:157]
	;; [unrolled: 1-line block ×10, first 2 shown]
	v_fma_f64 v[22:23], v[187:188], s[20:21], v[20:21]
	v_fma_f64 v[38:39], v[187:188], s[42:43], v[36:37]
	;; [unrolled: 1-line block ×5, first 2 shown]
	v_add_f64_e32 v[128:129], v[136:137], v[132:133]
	v_add_f64_e32 v[130:131], v[138:139], v[134:135]
	v_mul_f64_e32 v[132:133], s[42:43], v[140:141]
	v_mul_f64_e32 v[134:135], s[24:25], v[140:141]
	;; [unrolled: 1-line block ×5, first 2 shown]
	v_fma_f64 v[18:19], v[191:192], s[22:23], v[16:17]
	v_fma_f64 v[16:17], v[191:192], s[18:19], v[16:17]
	v_fma_f64 v[204:205], v[144:145], s[8:9], v[172:173]
	v_fma_f64 v[172:173], v[144:145], s[8:9], -v[172:173]
	v_fma_f64 v[218:219], v[146:147], s[36:37], v[208:209]
	v_fma_f64 v[220:221], v[146:147], s[34:35], v[210:211]
	;; [unrolled: 1-line block ×9, first 2 shown]
	v_fma_f64 v[132:133], v[144:145], s[16:17], -v[132:133]
	v_fma_f64 v[193:194], v[144:145], s[14:15], v[134:135]
	v_fma_f64 v[134:135], v[144:145], s[14:15], -v[134:135]
	v_fma_f64 v[195:196], v[144:145], s[12:13], v[136:137]
	;; [unrolled: 2-line block ×4, first 2 shown]
	v_fma_f64 v[140:141], v[144:145], s[0:1], -v[140:141]
	v_mul_f64_e32 v[144:145], s[16:17], v[142:143]
	v_mul_f64_e32 v[142:143], s[0:1], v[142:143]
	v_add_f64_e32 v[204:205], v[124:125], v[204:205]
	v_add_f64_e32 v[172:173], v[124:125], v[172:173]
	;; [unrolled: 1-line block ×17, first 2 shown]
	v_fma_f64 v[216:217], v[146:147], s[38:39], v[144:145]
	v_fma_f64 v[144:145], v[146:147], s[42:43], v[144:145]
	;; [unrolled: 1-line block ×4, first 2 shown]
	v_add_f64_e32 v[146:147], v[124:125], v[193:194]
	v_add_f64_e32 v[206:207], v[124:125], v[206:207]
	;; [unrolled: 1-line block ×3, first 2 shown]
	v_fma_f64 v[124:125], v[189:190], s[14:15], -v[234:235]
	v_mov_b32_e32 v193, v2
	v_fma_f64 v[2:3], v[187:188], s[22:23], v[0:1]
	v_fma_f64 v[0:1], v[187:188], s[18:19], v[0:1]
	v_add_f64_e32 v[16:17], v[16:17], v[210:211]
	v_add_f64_e32 v[18:19], v[18:19], v[195:196]
	v_mul_f64_e32 v[195:196], s[30:31], v[166:167]
	v_add_f64_e32 v[216:217], v[126:127], v[216:217]
	v_add_f64_e32 v[144:145], v[126:127], v[144:145]
	;; [unrolled: 1-line block ×4, first 2 shown]
	v_fma_f64 v[126:127], v[191:192], s[24:25], v[236:237]
	v_add_f64_e32 v[124:125], v[124:125], v[132:133]
	v_fma_f64 v[132:133], v[185:186], s[12:13], -v[238:239]
	v_add_f64_e32 v[18:19], v[22:23], v[18:19]
	v_mul_f64_e32 v[22:23], s[38:39], v[154:155]
	v_mul_f64_e32 v[154:155], s[36:37], v[154:155]
	v_add_f64_e32 v[126:127], v[126:127], v[144:145]
	v_add_f64_e32 v[124:125], v[132:133], v[124:125]
	v_fma_f64 v[132:133], v[187:188], s[40:41], v[240:241]
	v_add_f64_e32 v[18:19], v[26:27], v[18:19]
	v_mul_f64_e32 v[26:27], s[24:25], v[170:171]
	s_delay_alu instid0(VALU_DEP_3) | instskip(SKIP_1) | instid1(VALU_DEP_4)
	v_add_f64_e32 v[126:127], v[132:133], v[126:127]
	v_fma_f64 v[132:133], v[181:182], s[10:11], -v[242:243]
	v_add_f64_e32 v[18:19], v[30:31], v[18:19]
	v_mul_f64_e32 v[30:31], s[26:27], v[150:151]
	s_delay_alu instid0(VALU_DEP_3) | instskip(SKIP_1) | instid1(VALU_DEP_1)
	v_add_f64_e32 v[124:125], v[132:133], v[124:125]
	v_fma_f64 v[132:133], v[183:184], s[20:21], v[244:245]
	v_add_f64_e32 v[126:127], v[132:133], v[126:127]
	v_fma_f64 v[132:133], v[177:178], s[8:9], -v[246:247]
	s_delay_alu instid0(VALU_DEP_1) | instskip(SKIP_1) | instid1(VALU_DEP_1)
	v_add_f64_e32 v[124:125], v[132:133], v[124:125]
	v_fma_f64 v[132:133], v[179:180], s[26:27], v[248:249]
	v_add_f64_e32 v[126:127], v[132:133], v[126:127]
	v_fma_f64 v[132:133], v[160:161], s[0:1], -v[250:251]
	s_delay_alu instid0(VALU_DEP_1) | instskip(SKIP_1) | instid1(VALU_DEP_1)
	v_add_f64_e32 v[136:137], v[132:133], v[124:125]
	v_fma_f64 v[124:125], v[162:163], s[18:19], v[252:253]
	v_add_f64_e32 v[138:139], v[124:125], v[126:127]
	v_fma_f64 v[126:127], v[191:192], s[30:31], v[201:202]
	v_fma_f64 v[124:125], v[189:190], s[10:11], v[254:255]
	s_delay_alu instid0(VALU_DEP_2) | instskip(SKIP_1) | instid1(VALU_DEP_3)
	v_add_f64_e32 v[126:127], v[126:127], v[174:175]
	v_mul_f64_e32 v[174:175], s[18:19], v[166:167]
	v_add_f64_e32 v[124:125], v[124:125], v[146:147]
	s_delay_alu instid0(VALU_DEP_3) | instskip(NEXT) | instid1(VALU_DEP_3)
	v_add_f64_e32 v[2:3], v[2:3], v[126:127]
	v_fma_f64 v[132:133], v[185:186], s[0:1], v[174:175]
	s_delay_alu instid0(VALU_DEP_2) | instskip(NEXT) | instid1(VALU_DEP_2)
	v_add_f64_e32 v[2:3], v[10:11], v[2:3]
	v_add_f64_e32 v[124:125], v[132:133], v[124:125]
	v_mul_f64_e32 v[10:11], s[34:35], v[170:171]
	v_mul_f64_e32 v[170:171], s[20:21], v[170:171]
	s_delay_alu instid0(VALU_DEP_4) | instskip(NEXT) | instid1(VALU_DEP_4)
	v_add_f64_e32 v[2:3], v[14:15], v[2:3]
	v_add_f64_e32 v[6:7], v[6:7], v[124:125]
	s_delay_alu instid0(VALU_DEP_4) | instskip(SKIP_1) | instid1(VALU_DEP_2)
	v_fma_f64 v[124:125], v[177:178], s[12:13], v[10:11]
	v_mul_f64_e32 v[14:15], s[38:39], v[150:151]
	v_add_f64_e32 v[6:7], v[124:125], v[6:7]
	s_delay_alu instid0(VALU_DEP_2) | instskip(NEXT) | instid1(VALU_DEP_1)
	v_fma_f64 v[124:125], v[160:161], s[16:17], v[14:15]
	v_add_f64_e32 v[124:125], v[124:125], v[6:7]
	v_mul_f64_e32 v[6:7], s[16:17], v[148:149]
	s_delay_alu instid0(VALU_DEP_1) | instskip(SKIP_1) | instid1(VALU_DEP_2)
	v_fma_f64 v[126:127], v[162:163], s[42:43], v[6:7]
	v_fma_f64 v[6:7], v[162:163], s[38:39], v[6:7]
	v_add_f64_e32 v[126:127], v[126:127], v[2:3]
	v_mul_f64_e32 v[2:3], s[18:19], v[158:159]
	s_delay_alu instid0(VALU_DEP_1) | instskip(SKIP_1) | instid1(VALU_DEP_2)
	v_fma_f64 v[132:133], v[189:190], s[0:1], v[2:3]
	v_fma_f64 v[2:3], v[189:190], s[0:1], -v[2:3]
	v_add_f64_e32 v[132:133], v[132:133], v[134:135]
	v_fma_f64 v[134:135], v[185:186], s[10:11], v[195:196]
	s_delay_alu instid0(VALU_DEP_3) | instskip(NEXT) | instid1(VALU_DEP_2)
	v_add_f64_e32 v[2:3], v[2:3], v[218:219]
	v_add_f64_e32 v[132:133], v[134:135], v[132:133]
	v_fma_f64 v[134:135], v[181:182], s[16:17], v[22:23]
	s_delay_alu instid0(VALU_DEP_1) | instskip(SKIP_1) | instid1(VALU_DEP_1)
	v_add_f64_e32 v[132:133], v[134:135], v[132:133]
	v_fma_f64 v[134:135], v[177:178], s[14:15], v[26:27]
	v_add_f64_e32 v[132:133], v[134:135], v[132:133]
	v_fma_f64 v[134:135], v[160:161], s[8:9], v[30:31]
	s_delay_alu instid0(VALU_DEP_1) | instskip(SKIP_2) | instid1(VALU_DEP_1)
	v_add_f64_e32 v[132:133], v[134:135], v[132:133]
	v_add_f64_e32 v[134:135], v[34:35], v[18:19]
	v_mul_f64_e32 v[18:19], s[28:29], v[158:159]
	v_fma_f64 v[34:35], v[189:190], s[8:9], v[18:19]
	v_fma_f64 v[18:19], v[189:190], s[8:9], -v[18:19]
	s_delay_alu instid0(VALU_DEP_2) | instskip(SKIP_1) | instid1(VALU_DEP_3)
	v_add_f64_e32 v[34:35], v[34:35], v[197:198]
	v_mul_f64_e32 v[197:198], s[8:9], v[156:157]
	v_add_f64_e32 v[18:19], v[18:19], v[222:223]
	s_delay_alu instid0(VALU_DEP_2) | instskip(NEXT) | instid1(VALU_DEP_1)
	v_fma_f64 v[140:141], v[191:192], s[26:27], v[197:198]
	v_add_f64_e32 v[140:141], v[140:141], v[220:221]
	v_mul_f64_e32 v[220:221], s[38:39], v[166:167]
	s_delay_alu instid0(VALU_DEP_2) | instskip(NEXT) | instid1(VALU_DEP_2)
	v_add_f64_e32 v[38:39], v[38:39], v[140:141]
	v_fma_f64 v[142:143], v[185:186], s[16:17], v[220:221]
	s_delay_alu instid0(VALU_DEP_1) | instskip(NEXT) | instid1(VALU_DEP_1)
	v_add_f64_e32 v[34:35], v[142:143], v[34:35]
	v_add_f64_e32 v[34:35], v[42:43], v[34:35]
	v_mul_f64_e32 v[42:43], s[12:13], v[152:153]
	s_delay_alu instid0(VALU_DEP_2) | instskip(NEXT) | instid1(VALU_DEP_2)
	v_add_f64_e32 v[34:35], v[46:47], v[34:35]
	v_fma_f64 v[140:141], v[183:184], s[34:35], v[42:43]
	v_mul_f64_e32 v[46:47], s[0:1], v[168:169]
	s_delay_alu instid0(VALU_DEP_2) | instskip(NEXT) | instid1(VALU_DEP_2)
	v_add_f64_e32 v[38:39], v[140:141], v[38:39]
	v_fma_f64 v[140:141], v[179:180], s[18:19], v[46:47]
	s_delay_alu instid0(VALU_DEP_1) | instskip(SKIP_2) | instid1(VALU_DEP_1)
	v_add_f64_e32 v[38:39], v[140:141], v[38:39]
	v_add_f64_e32 v[140:141], v[50:51], v[34:35]
	v_mul_f64_e32 v[34:35], s[14:15], v[148:149]
	v_fma_f64 v[50:51], v[162:163], s[24:25], v[34:35]
	v_fma_f64 v[34:35], v[162:163], s[36:37], v[34:35]
	s_delay_alu instid0(VALU_DEP_2) | instskip(SKIP_1) | instid1(VALU_DEP_1)
	v_add_f64_e32 v[142:143], v[50:51], v[38:39]
	v_mul_f64_e32 v[38:39], s[34:35], v[158:159]
	v_fma_f64 v[50:51], v[189:190], s[12:13], v[38:39]
	v_fma_f64 v[38:39], v[189:190], s[12:13], -v[38:39]
	s_delay_alu instid0(VALU_DEP_2) | instskip(SKIP_2) | instid1(VALU_DEP_4)
	v_add_f64_e32 v[50:51], v[50:51], v[204:205]
	v_mul_f64_e32 v[204:205], s[12:13], v[156:157]
	v_mul_f64_e32 v[156:157], s[16:17], v[156:157]
	v_add_f64_e32 v[38:39], v[38:39], v[172:173]
	s_delay_alu instid0(VALU_DEP_3) | instskip(NEXT) | instid1(VALU_DEP_1)
	v_fma_f64 v[144:145], v[191:192], s[40:41], v[204:205]
	v_add_f64_e32 v[144:145], v[144:145], v[224:225]
	v_mul_f64_e32 v[224:225], s[24:25], v[166:167]
	v_mul_f64_e32 v[166:167], s[26:27], v[166:167]
	s_delay_alu instid0(VALU_DEP_3) | instskip(NEXT) | instid1(VALU_DEP_3)
	v_add_f64_e32 v[54:55], v[54:55], v[144:145]
	v_fma_f64 v[146:147], v[185:186], s[14:15], v[224:225]
	s_delay_alu instid0(VALU_DEP_1) | instskip(NEXT) | instid1(VALU_DEP_1)
	v_add_f64_e32 v[50:51], v[146:147], v[50:51]
	v_add_f64_e32 v[50:51], v[58:59], v[50:51]
	v_mul_f64_e32 v[58:59], s[0:1], v[152:153]
	v_mul_f64_e32 v[152:153], s[14:15], v[152:153]
	s_delay_alu instid0(VALU_DEP_3) | instskip(NEXT) | instid1(VALU_DEP_3)
	v_add_f64_e32 v[50:51], v[62:63], v[50:51]
	v_fma_f64 v[144:145], v[183:184], s[18:19], v[58:59]
	v_mul_f64_e32 v[62:63], s[16:17], v[168:169]
	v_mul_f64_e32 v[168:169], s[10:11], v[168:169]
	s_delay_alu instid0(VALU_DEP_3) | instskip(NEXT) | instid1(VALU_DEP_3)
	v_add_f64_e32 v[54:55], v[144:145], v[54:55]
	v_fma_f64 v[144:145], v[179:180], s[42:43], v[62:63]
	s_delay_alu instid0(VALU_DEP_1) | instskip(SKIP_2) | instid1(VALU_DEP_1)
	v_add_f64_e32 v[54:55], v[144:145], v[54:55]
	v_add_f64_e32 v[144:145], v[66:67], v[50:51]
	v_mul_f64_e32 v[50:51], s[10:11], v[148:149]
	v_fma_f64 v[66:67], v[162:163], s[30:31], v[50:51]
	v_fma_f64 v[50:51], v[162:163], s[20:21], v[50:51]
	s_delay_alu instid0(VALU_DEP_2) | instskip(SKIP_2) | instid1(VALU_DEP_2)
	v_add_f64_e32 v[146:147], v[66:67], v[54:55]
	v_mul_f64_e32 v[54:55], s[38:39], v[158:159]
	v_fma_f64 v[158:159], v[191:192], s[42:43], v[156:157]
	v_fma_f64 v[66:67], v[189:190], s[16:17], v[54:55]
	s_delay_alu instid0(VALU_DEP_2) | instskip(SKIP_2) | instid1(VALU_DEP_4)
	v_add_f64_e32 v[158:159], v[158:159], v[226:227]
	v_mul_f64_e32 v[226:227], s[12:13], v[148:149]
	v_fma_f64 v[54:55], v[189:190], s[16:17], -v[54:55]
	v_add_f64_e32 v[66:67], v[66:67], v[206:207]
	v_fma_f64 v[206:207], v[185:186], s[8:9], v[166:167]
	s_delay_alu instid0(VALU_DEP_3) | instskip(NEXT) | instid1(VALU_DEP_2)
	v_add_f64_e32 v[54:55], v[54:55], v[230:231]
	v_add_f64_e32 v[66:67], v[206:207], v[66:67]
	v_fma_f64 v[206:207], v[187:188], s[28:29], v[164:165]
	s_delay_alu instid0(VALU_DEP_1) | instskip(SKIP_2) | instid1(VALU_DEP_2)
	v_add_f64_e32 v[158:159], v[206:207], v[158:159]
	v_fma_f64 v[206:207], v[181:182], s[14:15], v[154:155]
	v_fma_f64 v[154:155], v[181:182], s[14:15], -v[154:155]
	v_add_f64_e32 v[66:67], v[206:207], v[66:67]
	v_fma_f64 v[206:207], v[183:184], s[24:25], v[152:153]
	v_fma_f64 v[152:153], v[183:184], s[36:37], v[152:153]
	s_delay_alu instid0(VALU_DEP_2) | instskip(SKIP_1) | instid1(VALU_DEP_1)
	v_add_f64_e32 v[158:159], v[206:207], v[158:159]
	v_fma_f64 v[206:207], v[177:178], s[10:11], v[170:171]
	v_add_f64_e32 v[66:67], v[206:207], v[66:67]
	v_fma_f64 v[206:207], v[179:180], s[30:31], v[168:169]
	s_delay_alu instid0(VALU_DEP_1) | instskip(SKIP_1) | instid1(VALU_DEP_1)
	v_add_f64_e32 v[158:159], v[206:207], v[158:159]
	v_mul_f64_e32 v[206:207], s[34:35], v[150:151]
	v_fma_f64 v[148:149], v[160:161], s[12:13], v[206:207]
	s_delay_alu instid0(VALU_DEP_1) | instskip(SKIP_1) | instid1(VALU_DEP_1)
	v_add_f64_e32 v[148:149], v[148:149], v[66:67]
	v_fma_f64 v[66:67], v[162:163], s[40:41], v[226:227]
	v_add_f64_e32 v[150:151], v[66:67], v[158:159]
	v_fma_f64 v[66:67], v[191:192], s[38:39], v[156:157]
	v_fma_f64 v[156:157], v[185:186], s[8:9], -v[166:167]
	s_delay_alu instid0(VALU_DEP_2) | instskip(NEXT) | instid1(VALU_DEP_2)
	v_add_f64_e32 v[66:67], v[66:67], v[232:233]
	v_add_f64_e32 v[54:55], v[156:157], v[54:55]
	v_fma_f64 v[156:157], v[187:188], s[26:27], v[164:165]
	s_delay_alu instid0(VALU_DEP_2) | instskip(NEXT) | instid1(VALU_DEP_2)
	v_add_f64_e32 v[54:55], v[154:155], v[54:55]
	v_add_f64_e32 v[66:67], v[156:157], v[66:67]
	v_fma_f64 v[154:155], v[162:163], s[34:35], v[226:227]
	s_delay_alu instid0(VALU_DEP_2) | instskip(SKIP_1) | instid1(VALU_DEP_1)
	v_add_f64_e32 v[66:67], v[152:153], v[66:67]
	v_fma_f64 v[152:153], v[177:178], s[10:11], -v[170:171]
	v_add_f64_e32 v[54:55], v[152:153], v[54:55]
	v_fma_f64 v[152:153], v[179:180], s[20:21], v[168:169]
	s_delay_alu instid0(VALU_DEP_1) | instskip(SKIP_1) | instid1(VALU_DEP_2)
	v_add_f64_e32 v[66:67], v[152:153], v[66:67]
	v_fma_f64 v[152:153], v[160:161], s[12:13], -v[206:207]
	v_add_f64_e32 v[154:155], v[154:155], v[66:67]
	s_delay_alu instid0(VALU_DEP_2) | instskip(SKIP_2) | instid1(VALU_DEP_2)
	v_add_f64_e32 v[152:153], v[152:153], v[54:55]
	v_fma_f64 v[54:55], v[191:192], s[34:35], v[204:205]
	v_fma_f64 v[66:67], v[185:186], s[14:15], -v[224:225]
	v_add_f64_e32 v[54:55], v[54:55], v[214:215]
	s_delay_alu instid0(VALU_DEP_2) | instskip(NEXT) | instid1(VALU_DEP_2)
	v_add_f64_e32 v[38:39], v[66:67], v[38:39]
	v_add_f64_e32 v[52:53], v[52:53], v[54:55]
	v_fma_f64 v[54:55], v[181:182], s[0:1], -v[56:57]
	s_delay_alu instid0(VALU_DEP_1) | instskip(SKIP_1) | instid1(VALU_DEP_1)
	v_add_f64_e32 v[38:39], v[54:55], v[38:39]
	v_fma_f64 v[54:55], v[183:184], s[22:23], v[58:59]
	v_add_f64_e32 v[52:53], v[54:55], v[52:53]
	v_fma_f64 v[54:55], v[177:178], s[16:17], -v[60:61]
	s_delay_alu instid0(VALU_DEP_1) | instskip(SKIP_1) | instid1(VALU_DEP_1)
	v_add_f64_e32 v[38:39], v[54:55], v[38:39]
	v_fma_f64 v[54:55], v[179:180], s[38:39], v[62:63]
	v_add_f64_e32 v[52:53], v[54:55], v[52:53]
	v_fma_f64 v[54:55], v[160:161], s[10:11], -v[64:65]
	s_delay_alu instid0(VALU_DEP_2) | instskip(NEXT) | instid1(VALU_DEP_2)
	v_add_f64_e32 v[158:159], v[50:51], v[52:53]
	v_add_f64_e32 v[156:157], v[54:55], v[38:39]
	v_fma_f64 v[38:39], v[191:192], s[28:29], v[197:198]
	v_fma_f64 v[50:51], v[185:186], s[16:17], -v[220:221]
	s_delay_alu instid0(VALU_DEP_2) | instskip(NEXT) | instid1(VALU_DEP_2)
	v_add_f64_e32 v[38:39], v[38:39], v[212:213]
	v_add_f64_e32 v[18:19], v[50:51], v[18:19]
	s_delay_alu instid0(VALU_DEP_2) | instskip(SKIP_1) | instid1(VALU_DEP_1)
	v_add_f64_e32 v[36:37], v[36:37], v[38:39]
	v_fma_f64 v[38:39], v[181:182], s[12:13], -v[40:41]
	v_add_f64_e32 v[18:19], v[38:39], v[18:19]
	v_fma_f64 v[38:39], v[183:184], s[40:41], v[42:43]
	s_delay_alu instid0(VALU_DEP_1) | instskip(SKIP_1) | instid1(VALU_DEP_1)
	v_add_f64_e32 v[36:37], v[38:39], v[36:37]
	v_fma_f64 v[38:39], v[177:178], s[0:1], -v[44:45]
	v_add_f64_e32 v[18:19], v[38:39], v[18:19]
	v_fma_f64 v[38:39], v[179:180], s[22:23], v[46:47]
	s_delay_alu instid0(VALU_DEP_1) | instskip(SKIP_1) | instid1(VALU_DEP_2)
	v_add_f64_e32 v[36:37], v[38:39], v[36:37]
	v_fma_f64 v[38:39], v[160:161], s[14:15], -v[48:49]
	v_add_f64_e32 v[166:167], v[34:35], v[36:37]
	s_delay_alu instid0(VALU_DEP_2) | instskip(SKIP_1) | instid1(VALU_DEP_1)
	v_add_f64_e32 v[164:165], v[38:39], v[18:19]
	v_fma_f64 v[18:19], v[185:186], s[10:11], -v[195:196]
	v_add_f64_e32 v[2:3], v[18:19], v[2:3]
	v_fma_f64 v[18:19], v[187:188], s[30:31], v[20:21]
	v_fma_f64 v[20:21], v[162:163], s[26:27], v[32:33]
	s_delay_alu instid0(VALU_DEP_2) | instskip(SKIP_1) | instid1(VALU_DEP_1)
	v_add_f64_e32 v[16:17], v[18:19], v[16:17]
	v_fma_f64 v[18:19], v[181:182], s[16:17], -v[22:23]
	v_add_f64_e32 v[2:3], v[18:19], v[2:3]
	v_fma_f64 v[18:19], v[183:184], s[38:39], v[24:25]
	s_delay_alu instid0(VALU_DEP_1) | instskip(SKIP_1) | instid1(VALU_DEP_1)
	v_add_f64_e32 v[16:17], v[18:19], v[16:17]
	v_fma_f64 v[18:19], v[177:178], s[14:15], -v[26:27]
	v_add_f64_e32 v[2:3], v[18:19], v[2:3]
	v_fma_f64 v[18:19], v[179:180], s[24:25], v[28:29]
	s_delay_alu instid0(VALU_DEP_1) | instskip(SKIP_1) | instid1(VALU_DEP_2)
	v_add_f64_e32 v[16:17], v[18:19], v[16:17]
	v_fma_f64 v[18:19], v[160:161], s[8:9], -v[30:31]
	v_add_f64_e32 v[170:171], v[20:21], v[16:17]
	s_delay_alu instid0(VALU_DEP_2) | instskip(SKIP_3) | instid1(VALU_DEP_3)
	v_add_f64_e32 v[168:169], v[18:19], v[2:3]
	v_fma_f64 v[2:3], v[189:190], s[10:11], -v[254:255]
	v_fma_f64 v[16:17], v[191:192], s[20:21], v[201:202]
	v_fma_f64 v[18:19], v[185:186], s[0:1], -v[174:175]
	v_add_f64_e32 v[2:3], v[2:3], v[68:69]
	s_delay_alu instid0(VALU_DEP_3) | instskip(NEXT) | instid1(VALU_DEP_2)
	v_add_f64_e32 v[16:17], v[16:17], v[208:209]
	v_add_f64_e32 v[2:3], v[18:19], v[2:3]
	s_delay_alu instid0(VALU_DEP_2) | instskip(NEXT) | instid1(VALU_DEP_2)
	v_add_f64_e32 v[0:1], v[0:1], v[16:17]
	v_add_f64_e32 v[2:3], v[4:5], v[2:3]
	v_fma_f64 v[4:5], v[183:184], s[28:29], v[8:9]
	v_fma_f64 v[8:9], v[181:182], s[10:11], v[242:243]
	s_delay_alu instid0(VALU_DEP_2) | instskip(SKIP_2) | instid1(VALU_DEP_2)
	v_add_f64_e32 v[0:1], v[4:5], v[0:1]
	v_fma_f64 v[4:5], v[177:178], s[12:13], -v[10:11]
	v_fma_f64 v[10:11], v[183:184], s[30:31], v[244:245]
	v_add_f64_e32 v[2:3], v[4:5], v[2:3]
	v_fma_f64 v[4:5], v[179:180], s[34:35], v[12:13]
	s_delay_alu instid0(VALU_DEP_1) | instskip(SKIP_1) | instid1(VALU_DEP_2)
	v_add_f64_e32 v[0:1], v[4:5], v[0:1]
	v_fma_f64 v[4:5], v[160:161], s[16:17], -v[14:15]
	v_add_f64_e32 v[174:175], v[6:7], v[0:1]
	s_delay_alu instid0(VALU_DEP_2) | instskip(SKIP_4) | instid1(VALU_DEP_4)
	v_add_f64_e32 v[172:173], v[4:5], v[2:3]
	v_fma_f64 v[0:1], v[189:190], s[14:15], v[234:235]
	v_fma_f64 v[2:3], v[191:192], s[36:37], v[236:237]
	v_fma_f64 v[4:5], v[185:186], s[12:13], v[238:239]
	v_fma_f64 v[6:7], v[187:188], s[34:35], v[240:241]
	v_add_f64_e32 v[0:1], v[0:1], v[228:229]
	s_delay_alu instid0(VALU_DEP_4) | instskip(NEXT) | instid1(VALU_DEP_2)
	v_add_f64_e32 v[2:3], v[2:3], v[216:217]
	v_add_f64_e32 v[0:1], v[4:5], v[0:1]
	s_delay_alu instid0(VALU_DEP_2) | instskip(SKIP_2) | instid1(VALU_DEP_4)
	v_add_f64_e32 v[2:3], v[6:7], v[2:3]
	v_fma_f64 v[4:5], v[177:178], s[8:9], v[246:247]
	v_fma_f64 v[6:7], v[179:180], s[28:29], v[248:249]
	v_add_f64_e32 v[0:1], v[8:9], v[0:1]
	s_delay_alu instid0(VALU_DEP_4) | instskip(SKIP_2) | instid1(VALU_DEP_4)
	v_add_f64_e32 v[2:3], v[10:11], v[2:3]
	v_fma_f64 v[8:9], v[160:161], s[0:1], v[250:251]
	v_fma_f64 v[10:11], v[162:163], s[22:23], v[252:253]
	v_add_f64_e32 v[0:1], v[4:5], v[0:1]
	s_delay_alu instid0(VALU_DEP_4) | instskip(NEXT) | instid1(VALU_DEP_2)
	v_add_f64_e32 v[2:3], v[6:7], v[2:3]
	v_add_f64_e32 v[160:161], v[8:9], v[0:1]
	s_delay_alu instid0(VALU_DEP_2)
	v_add_f64_e32 v[162:163], v[10:11], v[2:3]
	ds_store_b128 v203, v[124:127] offset:32
	ds_store_b128 v203, v[132:135] offset:48
	;; [unrolled: 1-line block ×12, first 2 shown]
	ds_store_b128 v203, v[128:131]
	global_wb scope:SCOPE_SE
	s_wait_dscnt 0x0
	s_barrier_signal -1
	s_barrier_wait -1
	global_inv scope:SCOPE_SE
	s_and_saveexec_b32 s0, vcc_lo
	s_cbranch_execz .LBB0_7
; %bb.6:
	ds_load_b128 v[128:131], v193
	ds_load_b128 v[160:163], v200 offset:208
	ds_load_b128 v[124:127], v200 offset:416
	;; [unrolled: 1-line block ×15, first 2 shown]
.LBB0_7:
	s_wait_alu 0xfffe
	s_or_b32 exec_lo, exec_lo, s0
	s_and_saveexec_b32 s10, vcc_lo
	s_cbranch_execz .LBB0_9
; %bb.8:
	s_clause 0x4
	scratch_load_b128 v[177:180], off, off offset:256 th:TH_LOAD_LU
	scratch_load_b128 v[68:71], off, off offset:240 th:TH_LOAD_LU
	;; [unrolled: 1-line block ×5, first 2 shown]
	s_wait_dscnt 0x5
	v_mul_f64_e32 v[2:3], v[90:91], v[168:169]
	v_mul_f64_e32 v[4:5], v[82:83], v[150:151]
	s_wait_dscnt 0x1
	v_mul_f64_e32 v[6:7], v[110:111], v[118:119]
	v_mul_f64_e32 v[12:13], v[86:87], v[138:139]
	;; [unrolled: 1-line block ×7, first 2 shown]
	s_wait_dscnt 0x0
	v_mul_f64_e32 v[28:29], v[106:107], v[122:123]
	v_mul_f64_e32 v[32:33], v[94:95], v[164:165]
	;; [unrolled: 1-line block ×11, first 2 shown]
	s_mov_b32 s0, 0x667f3bcd
	s_mov_b32 s1, 0x3fe6a09e
	s_mov_b32 s9, 0xbfe6a09e
	s_wait_alu 0xfffe
	s_mov_b32 s8, s0
	s_mov_b32 s14, 0xa6aea964
	s_mov_b32 s15, 0xbfd87de2
	s_mov_b32 s17, 0x3fd87de2
	s_wait_alu 0xfffe
	s_mov_b32 s16, s14
	;; [unrolled: 5-line block ×3, first 2 shown]
	v_fma_f64 v[2:3], v[88:89], v[170:171], -v[2:3]
	v_fma_f64 v[4:5], v[80:81], v[148:149], v[4:5]
	v_fma_f64 v[6:7], v[108:109], v[116:117], v[6:7]
	;; [unrolled: 1-line block ×3, first 2 shown]
	v_fma_f64 v[14:15], v[80:81], v[150:151], -v[14:15]
	v_fma_f64 v[16:17], v[108:109], v[118:119], -v[16:17]
	v_fma_f64 v[20:21], v[88:89], v[168:169], v[20:21]
	v_fma_f64 v[24:25], v[100:101], v[174:175], -v[24:25]
	v_fma_f64 v[26:27], v[76:77], v[152:153], v[26:27]
	v_fma_f64 v[28:29], v[104:105], v[120:121], v[28:29]
	v_fma_f64 v[32:33], v[92:93], v[166:167], -v[32:33]
	v_fma_f64 v[34:35], v[72:73], v[144:145], v[34:35]
	v_fma_f64 v[36:37], v[96:97], v[112:113], v[36:37]
	v_fma_f64 v[38:39], v[76:77], v[154:155], -v[38:39]
	v_fma_f64 v[40:41], v[104:105], v[122:123], -v[40:41]
	v_fma_f64 v[44:45], v[100:101], v[172:173], v[44:45]
	v_fma_f64 v[46:47], v[72:73], v[146:147], -v[46:47]
	v_fma_f64 v[48:49], v[96:97], v[114:115], -v[48:49]
	v_fma_f64 v[52:53], v[92:93], v[164:165], v[52:53]
	v_fma_f64 v[56:57], v[84:85], v[138:139], -v[56:57]
	v_add_f64_e64 v[6:7], v[4:5], -v[6:7]
	v_add_f64_e64 v[16:17], v[14:15], -v[16:17]
	;; [unrolled: 1-line block ×6, first 2 shown]
	v_fma_f64 v[4:5], v[4:5], 2.0, -v[6:7]
	v_fma_f64 v[14:15], v[14:15], 2.0, -v[16:17]
	;; [unrolled: 1-line block ×3, first 2 shown]
	s_delay_alu instid0(VALU_DEP_4)
	v_fma_f64 v[46:47], v[46:47], 2.0, -v[48:49]
	s_wait_loadcnt 0x4
	v_mul_f64_e32 v[0:1], v[179:180], v[124:125]
	v_mul_f64_e32 v[18:19], v[179:180], v[126:127]
	s_wait_loadcnt 0x2
	v_mul_f64_e32 v[8:9], v[183:184], v[156:157]
	s_wait_loadcnt 0x1
	v_mul_f64_e32 v[10:11], v[66:67], v[142:143]
	v_mul_f64_e32 v[22:23], v[70:71], v[132:133]
	s_wait_loadcnt 0x0
	v_mul_f64_e32 v[30:31], v[62:63], v[160:161]
	v_mul_f64_e32 v[42:43], v[70:71], v[134:135]
	;; [unrolled: 1-line block ×5, first 2 shown]
	v_fma_f64 v[0:1], v[177:178], v[126:127], -v[0:1]
	v_fma_f64 v[18:19], v[177:178], v[124:125], v[18:19]
	v_fma_f64 v[8:9], v[181:182], v[158:159], -v[8:9]
	v_fma_f64 v[10:11], v[64:65], v[140:141], v[10:11]
	v_fma_f64 v[22:23], v[68:69], v[134:135], -v[22:23]
	v_fma_f64 v[30:31], v[60:61], v[162:163], -v[30:31]
	v_fma_f64 v[42:43], v[68:69], v[132:133], v[42:43]
	v_fma_f64 v[50:51], v[60:61], v[160:161], v[50:51]
	v_fma_f64 v[54:55], v[64:65], v[142:143], -v[54:55]
	v_fma_f64 v[58:59], v[181:182], v[156:157], v[58:59]
	v_add_f64_e64 v[2:3], v[0:1], -v[2:3]
	v_add_f64_e64 v[20:21], v[18:19], -v[20:21]
	;; [unrolled: 1-line block ×11, first 2 shown]
	v_add_f64_e32 v[64:65], v[16:17], v[20:21]
	v_fma_f64 v[76:77], v[130:131], 2.0, -v[8:9]
	v_add_f64_e64 v[60:61], v[8:9], -v[12:13]
	v_add_f64_e64 v[68:69], v[24:25], -v[28:29]
	;; [unrolled: 1-line block ×3, first 2 shown]
	v_add_f64_e32 v[70:71], v[40:41], v[44:45]
	v_add_f64_e32 v[72:73], v[48:49], v[52:53]
	v_fma_f64 v[54:55], v[54:55], 2.0, -v[56:57]
	v_add_f64_e32 v[74:75], v[58:59], v[56:57]
	v_fma_f64 v[18:19], v[18:19], 2.0, -v[20:21]
	v_fma_f64 v[30:31], v[30:31], 2.0, -v[32:33]
	;; [unrolled: 1-line block ×18, first 2 shown]
	v_fma_f64 v[40:41], v[62:63], s[0:1], v[60:61]
	v_add_f64_e64 v[48:49], v[76:77], -v[54:55]
	v_add_f64_e64 v[26:27], v[42:43], -v[26:27]
	;; [unrolled: 1-line block ×7, first 2 shown]
	v_fma_f64 v[44:45], v[68:69], s[0:1], v[66:67]
	v_add_f64_e64 v[22:23], v[12:13], -v[22:23]
	v_fma_f64 v[50:51], v[70:71], s[0:1], v[72:73]
	v_fma_f64 v[52:53], v[64:65], s[0:1], v[74:75]
	;; [unrolled: 1-line block ×7, first 2 shown]
	v_fma_f64 v[64:65], v[76:77], 2.0, -v[48:49]
	v_fma_f64 v[42:43], v[42:43], 2.0, -v[26:27]
	;; [unrolled: 1-line block ×7, first 2 shown]
	v_fma_f64 v[44:45], v[70:71], s[8:9], v[44:45]
	v_fma_f64 v[12:13], v[12:13], 2.0, -v[22:23]
	v_fma_f64 v[50:51], v[68:69], s[0:1], v[50:51]
	v_fma_f64 v[84:85], v[62:63], s[0:1], v[52:53]
	v_add_f64_e64 v[4:5], v[48:49], -v[4:5]
	v_add_f64_e64 v[26:27], v[46:47], -v[26:27]
	v_add_f64_e32 v[22:23], v[22:23], v[16:17]
	v_add_f64_e32 v[14:15], v[10:11], v[14:15]
	v_fma_f64 v[8:9], v[8:9], s[8:9], v[54:55]
	v_fma_f64 v[32:33], v[32:33], s[8:9], v[56:57]
	;; [unrolled: 1-line block ×4, first 2 shown]
	v_fma_f64 v[88:89], v[60:61], 2.0, -v[40:41]
	v_add_f64_e64 v[0:1], v[64:65], -v[0:1]
	v_add_f64_e64 v[42:43], v[28:29], -v[42:43]
	;; [unrolled: 1-line block ×3, first 2 shown]
	v_fma_f64 v[52:53], v[66:67], 2.0, -v[44:45]
	v_add_f64_e64 v[12:13], v[30:31], -v[12:13]
	v_fma_f64 v[56:57], v[72:73], 2.0, -v[50:51]
	v_fma_f64 v[96:97], v[74:75], 2.0, -v[84:85]
	;; [unrolled: 1-line block ×6, first 2 shown]
	v_fma_f64 v[58:59], v[26:27], s[0:1], v[4:5]
	v_fma_f64 v[78:79], v[22:23], s[0:1], v[14:15]
	;; [unrolled: 1-line block ×4, first 2 shown]
	v_fma_f64 v[6:7], v[6:7], 2.0, -v[8:9]
	v_fma_f64 v[20:21], v[20:21], 2.0, -v[32:33]
	v_fma_f64 v[72:73], v[32:33], s[16:17], v[8:9]
	v_fma_f64 v[36:37], v[36:37], 2.0, -v[24:25]
	v_fma_f64 v[38:39], v[38:39], 2.0, -v[2:3]
	v_fma_f64 v[76:77], v[24:25], s[16:17], v[2:3]
	v_fma_f64 v[100:101], v[64:65], 2.0, -v[0:1]
	v_fma_f64 v[28:29], v[28:29], 2.0, -v[42:43]
	v_add_f64_e64 v[62:63], v[0:1], -v[42:43]
	v_fma_f64 v[34:35], v[34:35], 2.0, -v[18:19]
	v_fma_f64 v[66:67], v[52:53], s[14:15], v[88:89]
	v_fma_f64 v[30:31], v[30:31], 2.0, -v[12:13]
	v_add_f64_e32 v[60:61], v[18:19], v[12:13]
	v_fma_f64 v[64:65], v[56:57], s[14:15], v[96:97]
	v_fma_f64 v[82:83], v[46:47], s[8:9], v[48:49]
	;; [unrolled: 1-line block ×5, first 2 shown]
	s_wait_alu 0xfffe
	v_fma_f64 v[86:87], v[20:21], s[18:19], v[6:7]
	v_fma_f64 v[74:75], v[24:25], s[18:19], v[72:73]
	;; [unrolled: 1-line block ×4, first 2 shown]
	v_fma_f64 v[94:95], v[0:1], 2.0, -v[62:63]
	v_add_f64_e64 v[68:69], v[34:35], -v[28:29]
	v_fma_f64 v[66:67], v[56:57], s[18:19], v[66:67]
	v_add_f64_e64 v[70:71], v[100:101], -v[30:31]
	v_fma_f64 v[56:57], v[26:27], s[0:1], v[78:79]
	v_fma_f64 v[64:65], v[52:53], s[12:13], v[64:65]
	;; [unrolled: 1-line block ×5, first 2 shown]
	v_fma_f64 v[92:93], v[18:19], 2.0, -v[60:61]
	v_fma_f64 v[82:83], v[36:37], s[14:15], v[86:87]
	v_fma_f64 v[106:107], v[8:9], 2.0, -v[74:75]
	v_fma_f64 v[86:87], v[40:41], 2.0, -v[54:55]
	v_fma_f64 v[80:81], v[20:21], s[16:17], v[90:91]
	v_fma_f64 v[104:105], v[2:3], 2.0, -v[72:73]
	v_fma_f64 v[90:91], v[4:5], 2.0, -v[58:59]
	v_fma_f64 v[98:99], v[88:89], 2.0, -v[66:67]
	v_fma_f64 v[102:103], v[100:101], 2.0, -v[70:71]
	v_fma_f64 v[100:101], v[34:35], 2.0, -v[68:69]
	v_fma_f64 v[96:97], v[96:97], 2.0, -v[64:65]
	v_fma_f64 v[88:89], v[14:15], 2.0, -v[56:57]
	v_fma_f64 v[84:85], v[84:85], 2.0, -v[52:53]
	v_fma_f64 v[110:111], v[48:49], 2.0, -v[78:79]
	v_fma_f64 v[108:109], v[10:11], 2.0, -v[76:77]
	v_fma_f64 v[114:115], v[6:7], 2.0, -v[82:83]
	v_fma_f64 v[112:113], v[38:39], 2.0, -v[80:81]
	ds_store_b128 v193, v[100:103]
	ds_store_b128 v200, v[96:99] offset:624
	ds_store_b128 v200, v[92:95] offset:832
	;; [unrolled: 1-line block ×15, first 2 shown]
.LBB0_9:
	s_wait_alu 0xfffe
	s_or_b32 exec_lo, exec_lo, s10
	global_wb scope:SCOPE_SE
	s_wait_dscnt 0x0
	s_barrier_signal -1
	s_barrier_wait -1
	global_inv scope:SCOPE_SE
	ds_load_b128 v[52:55], v193
	ds_load_b128 v[56:59], v200 offset:256
	ds_load_b128 v[60:63], v200 offset:512
	;; [unrolled: 1-line block ×5, first 2 shown]
	s_clause 0x1
	scratch_load_b128 v[112:115], off, off offset:32 th:TH_LOAD_LU
	scratch_load_b128 v[108:111], off, off offset:16 th:TH_LOAD_LU
	ds_load_b128 v[76:79], v200 offset:1536
	ds_load_b128 v[80:83], v200 offset:1792
	;; [unrolled: 1-line block ×7, first 2 shown]
	scratch_load_b128 v[104:107], off, off th:TH_LOAD_LU ; 16-byte Folded Reload
	v_mad_co_u64_u32 v[0:1], null, s6, v176, 0
	v_mad_co_u64_u32 v[2:3], null, s4, v199, 0
	s_mov_b32 s0, 0x13b13b14
	s_mov_b32 s1, 0x3f73b13b
	s_lshl_b64 s[8:9], s[4:5], 8
	s_delay_alu instid0(VALU_DEP_1) | instskip(NEXT) | instid1(VALU_DEP_1)
	v_mad_co_u64_u32 v[16:17], null, s7, v176, v[1:2]
	v_mov_b32_e32 v1, v16
	s_delay_alu instid0(VALU_DEP_1) | instskip(NEXT) | instid1(VALU_DEP_1)
	v_lshlrev_b64_e32 v[0:1], 4, v[0:1]
	v_add_co_u32 v0, vcc_lo, s2, v0
	s_wait_alu 0xfffd
	s_delay_alu instid0(VALU_DEP_2)
	v_add_co_ci_u32_e32 v1, vcc_lo, s3, v1, vcc_lo
	s_wait_loadcnt_dscnt 0x20c
	v_mul_f64_e32 v[4:5], v[114:115], v[54:55]
	v_mul_f64_e32 v[6:7], v[114:115], v[52:53]
	scratch_load_b128 v[114:117], off, off offset:48 th:TH_LOAD_LU ; 16-byte Folded Reload
	s_wait_loadcnt_dscnt 0x20b
	v_mul_f64_e32 v[8:9], v[110:111], v[58:59]
	v_mul_f64_e32 v[10:11], v[110:111], v[56:57]
	s_wait_loadcnt_dscnt 0x10a
	v_mul_f64_e32 v[12:13], v[106:107], v[62:63]
	v_mul_f64_e32 v[14:15], v[106:107], v[60:61]
	v_mad_co_u64_u32 v[17:18], null, s5, v199, v[3:4]
	v_fma_f64 v[4:5], v[112:113], v[52:53], v[4:5]
	v_fma_f64 v[8:9], v[108:109], v[56:57], v[8:9]
	v_fma_f64 v[10:11], v[108:109], v[58:59], -v[10:11]
	v_fma_f64 v[6:7], v[112:113], v[54:55], -v[6:7]
	v_fma_f64 v[12:13], v[104:105], v[60:61], v[12:13]
	v_fma_f64 v[14:15], v[104:105], v[62:63], -v[14:15]
	v_mov_b32_e32 v3, v17
	scratch_load_b128 v[106:109], off, off offset:192 th:TH_LOAD_LU ; 16-byte Folded Reload
	v_lshlrev_b64_e32 v[2:3], 4, v[2:3]
	s_delay_alu instid0(VALU_DEP_1) | instskip(SKIP_1) | instid1(VALU_DEP_2)
	v_add_co_u32 v56, vcc_lo, v0, v2
	s_wait_alu 0xfffd
	v_add_co_ci_u32_e32 v57, vcc_lo, v1, v3, vcc_lo
	s_wait_alu 0xfffe
	s_delay_alu instid0(VALU_DEP_2) | instskip(SKIP_1) | instid1(VALU_DEP_2)
	v_add_co_u32 v58, vcc_lo, v56, s8
	s_wait_alu 0xfffd
	v_add_co_ci_u32_e32 v59, vcc_lo, s9, v57, vcc_lo
	s_delay_alu instid0(VALU_DEP_2) | instskip(SKIP_1) | instid1(VALU_DEP_2)
	v_add_co_u32 v62, vcc_lo, v58, s8
	s_wait_alu 0xfffd
	v_add_co_ci_u32_e32 v63, vcc_lo, s9, v59, vcc_lo
	v_mul_f64_e32 v[0:1], s[0:1], v[4:5]
	v_mul_f64_e32 v[4:5], s[0:1], v[8:9]
	;; [unrolled: 1-line block ×6, first 2 shown]
	s_wait_loadcnt_dscnt 0x109
	v_mul_f64_e32 v[18:19], v[116:117], v[66:67]
	v_mul_f64_e32 v[20:21], v[116:117], v[64:65]
	scratch_load_b128 v[116:119], off, off offset:64 th:TH_LOAD_LU ; 16-byte Folded Reload
	v_fma_f64 v[18:19], v[114:115], v[64:65], v[18:19]
	v_fma_f64 v[20:21], v[114:115], v[66:67], -v[20:21]
	v_add_co_u32 v64, vcc_lo, v62, s8
	s_wait_alu 0xfffd
	v_add_co_ci_u32_e32 v65, vcc_lo, s9, v63, vcc_lo
	s_delay_alu instid0(VALU_DEP_2) | instskip(SKIP_1) | instid1(VALU_DEP_2)
	v_add_co_u32 v66, vcc_lo, v64, s8
	s_wait_alu 0xfffd
	v_add_co_ci_u32_e32 v67, vcc_lo, s9, v65, vcc_lo
	s_wait_loadcnt_dscnt 0x100
	v_mul_f64_e32 v[52:53], v[108:109], v[102:103]
	v_mul_f64_e32 v[54:55], v[108:109], v[100:101]
	;; [unrolled: 1-line block ×4, first 2 shown]
	s_delay_alu instid0(VALU_DEP_4) | instskip(NEXT) | instid1(VALU_DEP_4)
	v_fma_f64 v[52:53], v[106:107], v[100:101], v[52:53]
	v_fma_f64 v[54:55], v[106:107], v[102:103], -v[54:55]
	s_wait_loadcnt 0x0
	v_mul_f64_e32 v[22:23], v[118:119], v[70:71]
	v_mul_f64_e32 v[24:25], v[118:119], v[68:69]
	scratch_load_b128 v[118:121], off, off offset:80 th:TH_LOAD_LU ; 16-byte Folded Reload
	v_fma_f64 v[22:23], v[116:117], v[68:69], v[22:23]
	v_fma_f64 v[24:25], v[116:117], v[70:71], -v[24:25]
	v_add_co_u32 v68, vcc_lo, v66, s8
	s_wait_alu 0xfffd
	v_add_co_ci_u32_e32 v69, vcc_lo, s9, v67, vcc_lo
	s_delay_alu instid0(VALU_DEP_3)
	v_mul_f64_e32 v[18:19], s[0:1], v[24:25]
	s_wait_loadcnt 0x0
	v_mul_f64_e32 v[26:27], v[120:121], v[74:75]
	v_mul_f64_e32 v[28:29], v[120:121], v[72:73]
	scratch_load_b128 v[120:123], off, off offset:96 th:TH_LOAD_LU ; 16-byte Folded Reload
	v_fma_f64 v[26:27], v[118:119], v[72:73], v[26:27]
	v_fma_f64 v[28:29], v[118:119], v[74:75], -v[28:29]
	s_delay_alu instid0(VALU_DEP_2)
	v_mul_f64_e32 v[20:21], s[0:1], v[26:27]
	s_wait_loadcnt 0x0
	v_mul_f64_e32 v[30:31], v[122:123], v[78:79]
	v_mul_f64_e32 v[32:33], v[122:123], v[76:77]
	scratch_load_b128 v[122:125], off, off offset:112 th:TH_LOAD_LU ; 16-byte Folded Reload
	v_fma_f64 v[30:31], v[120:121], v[76:77], v[30:31]
	v_fma_f64 v[32:33], v[120:121], v[78:79], -v[32:33]
	s_delay_alu instid0(VALU_DEP_2) | instskip(NEXT) | instid1(VALU_DEP_2)
	v_mul_f64_e32 v[24:25], s[0:1], v[30:31]
	v_mul_f64_e32 v[26:27], s[0:1], v[32:33]
	s_wait_loadcnt 0x0
	v_mul_f64_e32 v[34:35], v[124:125], v[82:83]
	v_mul_f64_e32 v[36:37], v[124:125], v[80:81]
	scratch_load_b128 v[124:127], off, off offset:128 th:TH_LOAD_LU ; 16-byte Folded Reload
	v_fma_f64 v[34:35], v[122:123], v[80:81], v[34:35]
	v_fma_f64 v[36:37], v[122:123], v[82:83], -v[36:37]
	s_delay_alu instid0(VALU_DEP_1)
	v_mul_f64_e32 v[30:31], s[0:1], v[36:37]
	s_wait_loadcnt 0x0
	v_mul_f64_e32 v[38:39], v[126:127], v[86:87]
	v_mul_f64_e32 v[40:41], v[126:127], v[84:85]
	scratch_load_b128 v[126:129], off, off offset:144 th:TH_LOAD_LU ; 16-byte Folded Reload
	v_fma_f64 v[38:39], v[124:125], v[84:85], v[38:39]
	v_fma_f64 v[40:41], v[124:125], v[86:87], -v[40:41]
	s_delay_alu instid0(VALU_DEP_2)
	v_mul_f64_e32 v[32:33], s[0:1], v[38:39]
	s_wait_loadcnt 0x0
	v_mul_f64_e32 v[42:43], v[128:129], v[90:91]
	v_mul_f64_e32 v[44:45], v[128:129], v[88:89]
	scratch_load_b128 v[128:131], off, off offset:160 th:TH_LOAD_LU ; 16-byte Folded Reload
	v_fma_f64 v[42:43], v[126:127], v[88:89], v[42:43]
	v_fma_f64 v[44:45], v[126:127], v[90:91], -v[44:45]
	s_delay_alu instid0(VALU_DEP_2) | instskip(NEXT) | instid1(VALU_DEP_2)
	v_mul_f64_e32 v[36:37], s[0:1], v[42:43]
	v_mul_f64_e32 v[38:39], s[0:1], v[44:45]
	;; [unrolled: 1-line block ×3, first 2 shown]
	v_add_co_u32 v44, vcc_lo, v68, s8
	s_wait_alu 0xfffd
	v_add_co_ci_u32_e32 v45, vcc_lo, s9, v69, vcc_lo
	s_wait_loadcnt 0x0
	v_mul_f64_e32 v[46:47], v[130:131], v[94:95]
	v_mul_f64_e32 v[48:49], v[130:131], v[92:93]
	scratch_load_b128 v[130:133], off, off offset:176 th:TH_LOAD_LU ; 16-byte Folded Reload
	s_clause 0x2
	global_store_b128 v[56:57], v[0:3], off
	global_store_b128 v[58:59], v[4:7], off
	global_store_b128 v[62:63], v[8:11], off
	v_add_co_u32 v8, vcc_lo, v44, s8
	s_wait_alu 0xfffd
	v_add_co_ci_u32_e32 v9, vcc_lo, s9, v45, vcc_lo
	global_store_b128 v[64:65], v[12:15], off
	v_add_co_u32 v10, vcc_lo, v8, s8
	s_wait_alu 0xfffd
	v_add_co_ci_u32_e32 v11, vcc_lo, s9, v9, vcc_lo
	s_delay_alu instid0(VALU_DEP_2) | instskip(SKIP_1) | instid1(VALU_DEP_2)
	v_add_co_u32 v12, vcc_lo, v10, s8
	s_wait_alu 0xfffd
	v_add_co_ci_u32_e32 v13, vcc_lo, s9, v11, vcc_lo
	s_delay_alu instid0(VALU_DEP_2) | instskip(SKIP_1) | instid1(VALU_DEP_2)
	v_add_co_u32 v14, vcc_lo, v12, s8
	s_wait_alu 0xfffd
	v_add_co_ci_u32_e32 v15, vcc_lo, s9, v13, vcc_lo
	v_fma_f64 v[46:47], v[128:129], v[92:93], v[46:47]
	v_fma_f64 v[48:49], v[128:129], v[94:95], -v[48:49]
	s_delay_alu instid0(VALU_DEP_2) | instskip(NEXT) | instid1(VALU_DEP_2)
	v_mul_f64_e32 v[0:1], s[0:1], v[46:47]
	v_mul_f64_e32 v[2:3], s[0:1], v[48:49]
	s_wait_loadcnt 0x0
	v_mul_f64_e32 v[50:51], v[132:133], v[98:99]
	v_mul_f64_e32 v[16:17], v[132:133], v[96:97]
	s_delay_alu instid0(VALU_DEP_2) | instskip(NEXT) | instid1(VALU_DEP_2)
	v_fma_f64 v[50:51], v[130:131], v[96:97], v[50:51]
	v_fma_f64 v[60:61], v[130:131], v[98:99], -v[16:17]
	v_mul_f64_e32 v[16:17], s[0:1], v[22:23]
	v_mul_f64_e32 v[22:23], s[0:1], v[28:29]
	;; [unrolled: 1-line block ×7, first 2 shown]
	global_store_b128 v[66:67], v[16:19], off
	v_add_co_u32 v16, vcc_lo, v14, s8
	s_wait_alu 0xfffd
	v_add_co_ci_u32_e32 v17, vcc_lo, s9, v15, vcc_lo
	global_store_b128 v[68:69], v[20:23], off
	global_store_b128 v[44:45], v[24:27], off
	;; [unrolled: 1-line block ×3, first 2 shown]
	v_add_co_u32 v8, vcc_lo, v16, s8
	s_wait_alu 0xfffd
	v_add_co_ci_u32_e32 v9, vcc_lo, s9, v17, vcc_lo
	global_store_b128 v[10:11], v[32:35], off
	global_store_b128 v[12:13], v[36:39], off
	;; [unrolled: 1-line block ×5, first 2 shown]
.LBB0_10:
	s_nop 0
	s_sendmsg sendmsg(MSG_DEALLOC_VGPRS)
	s_endpgm
	.section	.rodata,"a",@progbits
	.p2align	6, 0x0
	.amdhsa_kernel bluestein_single_back_len208_dim1_dp_op_CI_CI
		.amdhsa_group_segment_fixed_size 13312
		.amdhsa_private_segment_fixed_size 292
		.amdhsa_kernarg_size 104
		.amdhsa_user_sgpr_count 2
		.amdhsa_user_sgpr_dispatch_ptr 0
		.amdhsa_user_sgpr_queue_ptr 0
		.amdhsa_user_sgpr_kernarg_segment_ptr 1
		.amdhsa_user_sgpr_dispatch_id 0
		.amdhsa_user_sgpr_private_segment_size 0
		.amdhsa_wavefront_size32 1
		.amdhsa_uses_dynamic_stack 0
		.amdhsa_enable_private_segment 1
		.amdhsa_system_sgpr_workgroup_id_x 1
		.amdhsa_system_sgpr_workgroup_id_y 0
		.amdhsa_system_sgpr_workgroup_id_z 0
		.amdhsa_system_sgpr_workgroup_info 0
		.amdhsa_system_vgpr_workitem_id 0
		.amdhsa_next_free_vgpr 256
		.amdhsa_next_free_sgpr 44
		.amdhsa_reserve_vcc 1
		.amdhsa_float_round_mode_32 0
		.amdhsa_float_round_mode_16_64 0
		.amdhsa_float_denorm_mode_32 3
		.amdhsa_float_denorm_mode_16_64 3
		.amdhsa_fp16_overflow 0
		.amdhsa_workgroup_processor_mode 1
		.amdhsa_memory_ordered 1
		.amdhsa_forward_progress 0
		.amdhsa_round_robin_scheduling 0
		.amdhsa_exception_fp_ieee_invalid_op 0
		.amdhsa_exception_fp_denorm_src 0
		.amdhsa_exception_fp_ieee_div_zero 0
		.amdhsa_exception_fp_ieee_overflow 0
		.amdhsa_exception_fp_ieee_underflow 0
		.amdhsa_exception_fp_ieee_inexact 0
		.amdhsa_exception_int_div_zero 0
	.end_amdhsa_kernel
	.text
.Lfunc_end0:
	.size	bluestein_single_back_len208_dim1_dp_op_CI_CI, .Lfunc_end0-bluestein_single_back_len208_dim1_dp_op_CI_CI
                                        ; -- End function
	.section	.AMDGPU.csdata,"",@progbits
; Kernel info:
; codeLenInByte = 14148
; NumSgprs: 46
; NumVgprs: 256
; ScratchSize: 292
; MemoryBound: 0
; FloatMode: 240
; IeeeMode: 1
; LDSByteSize: 13312 bytes/workgroup (compile time only)
; SGPRBlocks: 5
; VGPRBlocks: 31
; NumSGPRsForWavesPerEU: 46
; NumVGPRsForWavesPerEU: 256
; Occupancy: 5
; WaveLimiterHint : 1
; COMPUTE_PGM_RSRC2:SCRATCH_EN: 1
; COMPUTE_PGM_RSRC2:USER_SGPR: 2
; COMPUTE_PGM_RSRC2:TRAP_HANDLER: 0
; COMPUTE_PGM_RSRC2:TGID_X_EN: 1
; COMPUTE_PGM_RSRC2:TGID_Y_EN: 0
; COMPUTE_PGM_RSRC2:TGID_Z_EN: 0
; COMPUTE_PGM_RSRC2:TIDIG_COMP_CNT: 0
	.text
	.p2alignl 7, 3214868480
	.fill 96, 4, 3214868480
	.type	__hip_cuid_885c3ff820f264bf,@object ; @__hip_cuid_885c3ff820f264bf
	.section	.bss,"aw",@nobits
	.globl	__hip_cuid_885c3ff820f264bf
__hip_cuid_885c3ff820f264bf:
	.byte	0                               ; 0x0
	.size	__hip_cuid_885c3ff820f264bf, 1

	.ident	"AMD clang version 19.0.0git (https://github.com/RadeonOpenCompute/llvm-project roc-6.4.0 25133 c7fe45cf4b819c5991fe208aaa96edf142730f1d)"
	.section	".note.GNU-stack","",@progbits
	.addrsig
	.addrsig_sym __hip_cuid_885c3ff820f264bf
	.amdgpu_metadata
---
amdhsa.kernels:
  - .args:
      - .actual_access:  read_only
        .address_space:  global
        .offset:         0
        .size:           8
        .value_kind:     global_buffer
      - .actual_access:  read_only
        .address_space:  global
        .offset:         8
        .size:           8
        .value_kind:     global_buffer
      - .actual_access:  read_only
        .address_space:  global
        .offset:         16
        .size:           8
        .value_kind:     global_buffer
      - .actual_access:  read_only
        .address_space:  global
        .offset:         24
        .size:           8
        .value_kind:     global_buffer
      - .actual_access:  read_only
        .address_space:  global
        .offset:         32
        .size:           8
        .value_kind:     global_buffer
      - .offset:         40
        .size:           8
        .value_kind:     by_value
      - .address_space:  global
        .offset:         48
        .size:           8
        .value_kind:     global_buffer
      - .address_space:  global
        .offset:         56
        .size:           8
        .value_kind:     global_buffer
      - .address_space:  global
        .offset:         64
        .size:           8
        .value_kind:     global_buffer
      - .address_space:  global
        .offset:         72
        .size:           8
        .value_kind:     global_buffer
      - .offset:         80
        .size:           4
        .value_kind:     by_value
      - .address_space:  global
        .offset:         88
        .size:           8
        .value_kind:     global_buffer
      - .address_space:  global
        .offset:         96
        .size:           8
        .value_kind:     global_buffer
    .group_segment_fixed_size: 13312
    .kernarg_segment_align: 8
    .kernarg_segment_size: 104
    .language:       OpenCL C
    .language_version:
      - 2
      - 0
    .max_flat_workgroup_size: 64
    .name:           bluestein_single_back_len208_dim1_dp_op_CI_CI
    .private_segment_fixed_size: 292
    .sgpr_count:     46
    .sgpr_spill_count: 0
    .symbol:         bluestein_single_back_len208_dim1_dp_op_CI_CI.kd
    .uniform_work_group_size: 1
    .uses_dynamic_stack: false
    .vgpr_count:     256
    .vgpr_spill_count: 72
    .wavefront_size: 32
    .workgroup_processor_mode: 1
amdhsa.target:   amdgcn-amd-amdhsa--gfx1201
amdhsa.version:
  - 1
  - 2
...

	.end_amdgpu_metadata
